;; amdgpu-corpus repo=ROCm/rocFFT kind=compiled arch=gfx1201 opt=O3
	.text
	.amdgcn_target "amdgcn-amd-amdhsa--gfx1201"
	.amdhsa_code_object_version 6
	.protected	fft_rtc_back_len2000_factors_5_5_5_16_wgs_125_tpt_125_halfLds_sp_ip_CI_sbrr_dirReg ; -- Begin function fft_rtc_back_len2000_factors_5_5_5_16_wgs_125_tpt_125_halfLds_sp_ip_CI_sbrr_dirReg
	.globl	fft_rtc_back_len2000_factors_5_5_5_16_wgs_125_tpt_125_halfLds_sp_ip_CI_sbrr_dirReg
	.p2align	8
	.type	fft_rtc_back_len2000_factors_5_5_5_16_wgs_125_tpt_125_halfLds_sp_ip_CI_sbrr_dirReg,@function
fft_rtc_back_len2000_factors_5_5_5_16_wgs_125_tpt_125_halfLds_sp_ip_CI_sbrr_dirReg: ; @fft_rtc_back_len2000_factors_5_5_5_16_wgs_125_tpt_125_halfLds_sp_ip_CI_sbrr_dirReg
; %bb.0:
	s_clause 0x2
	s_load_b64 s[12:13], s[0:1], 0x18
	s_load_b128 s[4:7], s[0:1], 0x0
	s_load_b64 s[10:11], s[0:1], 0x50
	v_mul_u32_u24_e32 v1, 0x20d, v0
	v_mov_b32_e32 v3, 0
	s_delay_alu instid0(VALU_DEP_2) | instskip(NEXT) | instid1(VALU_DEP_1)
	v_lshrrev_b32_e32 v1, 16, v1
	v_add_nc_u32_e32 v5, ttmp9, v1
	v_mov_b32_e32 v1, 0
	v_mov_b32_e32 v2, 0
	;; [unrolled: 1-line block ×3, first 2 shown]
	s_wait_kmcnt 0x0
	s_load_b64 s[8:9], s[12:13], 0x0
	v_cmp_lt_u64_e64 s2, s[6:7], 2
	s_delay_alu instid0(VALU_DEP_1)
	s_and_b32 vcc_lo, exec_lo, s2
	s_cbranch_vccnz .LBB0_8
; %bb.1:
	s_load_b64 s[2:3], s[0:1], 0x10
	v_mov_b32_e32 v1, 0
	v_mov_b32_e32 v2, 0
	s_add_nc_u64 s[14:15], s[12:13], 8
	s_mov_b64 s[16:17], 1
	s_wait_kmcnt 0x0
	s_add_nc_u64 s[18:19], s[2:3], 8
	s_mov_b32 s3, 0
.LBB0_2:                                ; =>This Inner Loop Header: Depth=1
	s_load_b64 s[20:21], s[18:19], 0x0
                                        ; implicit-def: $vgpr7_vgpr8
	s_mov_b32 s2, exec_lo
	s_wait_kmcnt 0x0
	v_or_b32_e32 v4, s21, v6
	s_delay_alu instid0(VALU_DEP_1)
	v_cmpx_ne_u64_e32 0, v[3:4]
	s_wait_alu 0xfffe
	s_xor_b32 s22, exec_lo, s2
	s_cbranch_execz .LBB0_4
; %bb.3:                                ;   in Loop: Header=BB0_2 Depth=1
	s_cvt_f32_u32 s2, s20
	s_cvt_f32_u32 s23, s21
	s_sub_nc_u64 s[26:27], 0, s[20:21]
	s_wait_alu 0xfffe
	s_delay_alu instid0(SALU_CYCLE_1) | instskip(SKIP_1) | instid1(SALU_CYCLE_2)
	s_fmamk_f32 s2, s23, 0x4f800000, s2
	s_wait_alu 0xfffe
	v_s_rcp_f32 s2, s2
	s_delay_alu instid0(TRANS32_DEP_1) | instskip(SKIP_1) | instid1(SALU_CYCLE_2)
	s_mul_f32 s2, s2, 0x5f7ffffc
	s_wait_alu 0xfffe
	s_mul_f32 s23, s2, 0x2f800000
	s_wait_alu 0xfffe
	s_delay_alu instid0(SALU_CYCLE_2) | instskip(SKIP_1) | instid1(SALU_CYCLE_2)
	s_trunc_f32 s23, s23
	s_wait_alu 0xfffe
	s_fmamk_f32 s2, s23, 0xcf800000, s2
	s_cvt_u32_f32 s25, s23
	s_wait_alu 0xfffe
	s_delay_alu instid0(SALU_CYCLE_1) | instskip(SKIP_1) | instid1(SALU_CYCLE_2)
	s_cvt_u32_f32 s24, s2
	s_wait_alu 0xfffe
	s_mul_u64 s[28:29], s[26:27], s[24:25]
	s_wait_alu 0xfffe
	s_mul_hi_u32 s31, s24, s29
	s_mul_i32 s30, s24, s29
	s_mul_hi_u32 s2, s24, s28
	s_mul_i32 s33, s25, s28
	s_wait_alu 0xfffe
	s_add_nc_u64 s[30:31], s[2:3], s[30:31]
	s_mul_hi_u32 s23, s25, s28
	s_mul_hi_u32 s34, s25, s29
	s_add_co_u32 s2, s30, s33
	s_wait_alu 0xfffe
	s_add_co_ci_u32 s2, s31, s23
	s_mul_i32 s28, s25, s29
	s_add_co_ci_u32 s29, s34, 0
	s_wait_alu 0xfffe
	s_add_nc_u64 s[28:29], s[2:3], s[28:29]
	s_wait_alu 0xfffe
	v_add_co_u32 v4, s2, s24, s28
	s_delay_alu instid0(VALU_DEP_1) | instskip(SKIP_1) | instid1(VALU_DEP_1)
	s_cmp_lg_u32 s2, 0
	s_add_co_ci_u32 s25, s25, s29
	v_readfirstlane_b32 s24, v4
	s_wait_alu 0xfffe
	s_delay_alu instid0(VALU_DEP_1)
	s_mul_u64 s[26:27], s[26:27], s[24:25]
	s_wait_alu 0xfffe
	s_mul_hi_u32 s29, s24, s27
	s_mul_i32 s28, s24, s27
	s_mul_hi_u32 s2, s24, s26
	s_mul_i32 s30, s25, s26
	s_wait_alu 0xfffe
	s_add_nc_u64 s[28:29], s[2:3], s[28:29]
	s_mul_hi_u32 s23, s25, s26
	s_mul_hi_u32 s24, s25, s27
	s_wait_alu 0xfffe
	s_add_co_u32 s2, s28, s30
	s_add_co_ci_u32 s2, s29, s23
	s_mul_i32 s26, s25, s27
	s_add_co_ci_u32 s27, s24, 0
	s_wait_alu 0xfffe
	s_add_nc_u64 s[26:27], s[2:3], s[26:27]
	s_wait_alu 0xfffe
	v_add_co_u32 v4, s2, v4, s26
	s_delay_alu instid0(VALU_DEP_1) | instskip(SKIP_1) | instid1(VALU_DEP_1)
	s_cmp_lg_u32 s2, 0
	s_add_co_ci_u32 s2, s25, s27
	v_mul_hi_u32 v13, v5, v4
	s_wait_alu 0xfffe
	v_mad_co_u64_u32 v[7:8], null, v5, s2, 0
	v_mad_co_u64_u32 v[9:10], null, v6, v4, 0
	;; [unrolled: 1-line block ×3, first 2 shown]
	s_delay_alu instid0(VALU_DEP_3) | instskip(SKIP_1) | instid1(VALU_DEP_4)
	v_add_co_u32 v4, vcc_lo, v13, v7
	s_wait_alu 0xfffd
	v_add_co_ci_u32_e32 v7, vcc_lo, 0, v8, vcc_lo
	s_delay_alu instid0(VALU_DEP_2) | instskip(SKIP_1) | instid1(VALU_DEP_2)
	v_add_co_u32 v4, vcc_lo, v4, v9
	s_wait_alu 0xfffd
	v_add_co_ci_u32_e32 v4, vcc_lo, v7, v10, vcc_lo
	s_wait_alu 0xfffd
	v_add_co_ci_u32_e32 v7, vcc_lo, 0, v12, vcc_lo
	s_delay_alu instid0(VALU_DEP_2) | instskip(SKIP_1) | instid1(VALU_DEP_2)
	v_add_co_u32 v4, vcc_lo, v4, v11
	s_wait_alu 0xfffd
	v_add_co_ci_u32_e32 v9, vcc_lo, 0, v7, vcc_lo
	s_delay_alu instid0(VALU_DEP_2) | instskip(SKIP_1) | instid1(VALU_DEP_3)
	v_mul_lo_u32 v10, s21, v4
	v_mad_co_u64_u32 v[7:8], null, s20, v4, 0
	v_mul_lo_u32 v11, s20, v9
	s_delay_alu instid0(VALU_DEP_2) | instskip(NEXT) | instid1(VALU_DEP_2)
	v_sub_co_u32 v7, vcc_lo, v5, v7
	v_add3_u32 v8, v8, v11, v10
	s_delay_alu instid0(VALU_DEP_1) | instskip(SKIP_1) | instid1(VALU_DEP_1)
	v_sub_nc_u32_e32 v10, v6, v8
	s_wait_alu 0xfffd
	v_subrev_co_ci_u32_e64 v10, s2, s21, v10, vcc_lo
	v_add_co_u32 v11, s2, v4, 2
	s_wait_alu 0xf1ff
	v_add_co_ci_u32_e64 v12, s2, 0, v9, s2
	v_sub_co_u32 v13, s2, v7, s20
	v_sub_co_ci_u32_e32 v8, vcc_lo, v6, v8, vcc_lo
	s_wait_alu 0xf1ff
	v_subrev_co_ci_u32_e64 v10, s2, 0, v10, s2
	s_delay_alu instid0(VALU_DEP_3) | instskip(NEXT) | instid1(VALU_DEP_3)
	v_cmp_le_u32_e32 vcc_lo, s20, v13
	v_cmp_eq_u32_e64 s2, s21, v8
	s_wait_alu 0xfffd
	v_cndmask_b32_e64 v13, 0, -1, vcc_lo
	v_cmp_le_u32_e32 vcc_lo, s21, v10
	s_wait_alu 0xfffd
	v_cndmask_b32_e64 v14, 0, -1, vcc_lo
	v_cmp_le_u32_e32 vcc_lo, s20, v7
	;; [unrolled: 3-line block ×3, first 2 shown]
	s_wait_alu 0xfffd
	v_cndmask_b32_e64 v15, 0, -1, vcc_lo
	v_cmp_eq_u32_e32 vcc_lo, s21, v10
	s_wait_alu 0xf1ff
	s_delay_alu instid0(VALU_DEP_2)
	v_cndmask_b32_e64 v7, v15, v7, s2
	s_wait_alu 0xfffd
	v_cndmask_b32_e32 v10, v14, v13, vcc_lo
	v_add_co_u32 v13, vcc_lo, v4, 1
	s_wait_alu 0xfffd
	v_add_co_ci_u32_e32 v14, vcc_lo, 0, v9, vcc_lo
	s_delay_alu instid0(VALU_DEP_3) | instskip(SKIP_2) | instid1(VALU_DEP_3)
	v_cmp_ne_u32_e32 vcc_lo, 0, v10
	s_wait_alu 0xfffd
	v_cndmask_b32_e32 v10, v13, v11, vcc_lo
	v_cndmask_b32_e32 v8, v14, v12, vcc_lo
	v_cmp_ne_u32_e32 vcc_lo, 0, v7
	s_wait_alu 0xfffd
	s_delay_alu instid0(VALU_DEP_2)
	v_dual_cndmask_b32 v7, v4, v10 :: v_dual_cndmask_b32 v8, v9, v8
.LBB0_4:                                ;   in Loop: Header=BB0_2 Depth=1
	s_wait_alu 0xfffe
	s_and_not1_saveexec_b32 s2, s22
	s_cbranch_execz .LBB0_6
; %bb.5:                                ;   in Loop: Header=BB0_2 Depth=1
	v_cvt_f32_u32_e32 v4, s20
	s_sub_co_i32 s22, 0, s20
	s_delay_alu instid0(VALU_DEP_1) | instskip(NEXT) | instid1(TRANS32_DEP_1)
	v_rcp_iflag_f32_e32 v4, v4
	v_mul_f32_e32 v4, 0x4f7ffffe, v4
	s_delay_alu instid0(VALU_DEP_1) | instskip(SKIP_1) | instid1(VALU_DEP_1)
	v_cvt_u32_f32_e32 v4, v4
	s_wait_alu 0xfffe
	v_mul_lo_u32 v7, s22, v4
	s_delay_alu instid0(VALU_DEP_1) | instskip(NEXT) | instid1(VALU_DEP_1)
	v_mul_hi_u32 v7, v4, v7
	v_add_nc_u32_e32 v4, v4, v7
	s_delay_alu instid0(VALU_DEP_1) | instskip(NEXT) | instid1(VALU_DEP_1)
	v_mul_hi_u32 v4, v5, v4
	v_mul_lo_u32 v7, v4, s20
	v_add_nc_u32_e32 v8, 1, v4
	s_delay_alu instid0(VALU_DEP_2) | instskip(NEXT) | instid1(VALU_DEP_1)
	v_sub_nc_u32_e32 v7, v5, v7
	v_subrev_nc_u32_e32 v9, s20, v7
	v_cmp_le_u32_e32 vcc_lo, s20, v7
	s_wait_alu 0xfffd
	s_delay_alu instid0(VALU_DEP_2) | instskip(NEXT) | instid1(VALU_DEP_1)
	v_dual_cndmask_b32 v7, v7, v9 :: v_dual_cndmask_b32 v4, v4, v8
	v_cmp_le_u32_e32 vcc_lo, s20, v7
	s_delay_alu instid0(VALU_DEP_2) | instskip(SKIP_1) | instid1(VALU_DEP_1)
	v_add_nc_u32_e32 v8, 1, v4
	s_wait_alu 0xfffd
	v_dual_cndmask_b32 v7, v4, v8 :: v_dual_mov_b32 v8, v3
.LBB0_6:                                ;   in Loop: Header=BB0_2 Depth=1
	s_wait_alu 0xfffe
	s_or_b32 exec_lo, exec_lo, s2
	s_load_b64 s[22:23], s[14:15], 0x0
	s_delay_alu instid0(VALU_DEP_1)
	v_mul_lo_u32 v4, v8, s20
	v_mul_lo_u32 v11, v7, s21
	v_mad_co_u64_u32 v[9:10], null, v7, s20, 0
	s_add_nc_u64 s[16:17], s[16:17], 1
	s_add_nc_u64 s[14:15], s[14:15], 8
	s_wait_alu 0xfffe
	v_cmp_ge_u64_e64 s2, s[16:17], s[6:7]
	s_add_nc_u64 s[18:19], s[18:19], 8
	s_delay_alu instid0(VALU_DEP_2) | instskip(NEXT) | instid1(VALU_DEP_3)
	v_add3_u32 v4, v10, v11, v4
	v_sub_co_u32 v5, vcc_lo, v5, v9
	s_wait_alu 0xfffd
	s_delay_alu instid0(VALU_DEP_2) | instskip(SKIP_3) | instid1(VALU_DEP_2)
	v_sub_co_ci_u32_e32 v4, vcc_lo, v6, v4, vcc_lo
	s_and_b32 vcc_lo, exec_lo, s2
	s_wait_kmcnt 0x0
	v_mul_lo_u32 v6, s23, v5
	v_mul_lo_u32 v4, s22, v4
	v_mad_co_u64_u32 v[1:2], null, s22, v5, v[1:2]
	s_delay_alu instid0(VALU_DEP_1)
	v_add3_u32 v2, v6, v2, v4
	s_wait_alu 0xfffe
	s_cbranch_vccnz .LBB0_9
; %bb.7:                                ;   in Loop: Header=BB0_2 Depth=1
	v_dual_mov_b32 v5, v7 :: v_dual_mov_b32 v6, v8
	s_branch .LBB0_2
.LBB0_8:
	v_dual_mov_b32 v8, v6 :: v_dual_mov_b32 v7, v5
.LBB0_9:
	s_lshl_b64 s[2:3], s[6:7], 3
	v_mul_hi_u32 v3, 0x20c49bb, v0
	s_wait_alu 0xfffe
	s_add_nc_u64 s[2:3], s[12:13], s[2:3]
	s_load_b64 s[2:3], s[2:3], 0x0
	s_load_b64 s[0:1], s[0:1], 0x20
	s_delay_alu instid0(VALU_DEP_1) | instskip(NEXT) | instid1(VALU_DEP_1)
	v_mul_u32_u24_e32 v3, 0x7d, v3
	v_sub_nc_u32_e32 v27, v0, v3
	s_delay_alu instid0(VALU_DEP_1)
	v_add_nc_u32_e32 v56, 0x7d, v27
	v_add_nc_u32_e32 v55, 0xfa, v27
	s_wait_kmcnt 0x0
	v_mul_lo_u32 v4, s2, v8
	v_mul_lo_u32 v5, s3, v7
	v_mad_co_u64_u32 v[1:2], null, s2, v7, v[1:2]
	v_cmp_gt_u64_e32 vcc_lo, s[0:1], v[7:8]
	v_cmp_le_u64_e64 s0, s[0:1], v[7:8]
                                        ; implicit-def: $sgpr2
	s_delay_alu instid0(VALU_DEP_3) | instskip(NEXT) | instid1(VALU_DEP_2)
	v_add3_u32 v2, v5, v2, v4
	s_and_saveexec_b32 s1, s0
	s_wait_alu 0xfffe
	s_xor_b32 s0, exec_lo, s1
; %bb.10:
	v_add_nc_u32_e32 v56, 0x7d, v27
	v_add_nc_u32_e32 v55, 0xfa, v27
	s_mov_b32 s2, 0
; %bb.11:
	s_wait_alu 0xfffe
	s_or_saveexec_b32 s1, s0
	v_lshlrev_b64_e32 v[28:29], 3, v[1:2]
	v_mov_b32_e32 v54, s2
                                        ; implicit-def: $vgpr3
                                        ; implicit-def: $vgpr20
                                        ; implicit-def: $vgpr22
                                        ; implicit-def: $vgpr18
                                        ; implicit-def: $vgpr41
                                        ; implicit-def: $vgpr5
                                        ; implicit-def: $vgpr26
                                        ; implicit-def: $vgpr31
                                        ; implicit-def: $vgpr43
                                        ; implicit-def: $vgpr47
                                        ; implicit-def: $vgpr14
                                        ; implicit-def: $vgpr33
                                        ; implicit-def: $vgpr35
                                        ; implicit-def: $vgpr37
                                        ; implicit-def: $vgpr39
                                        ; implicit-def: $vgpr45
                                        ; implicit-def: $vgpr53
                                        ; implicit-def: $vgpr51
                                        ; implicit-def: $vgpr49
                                        ; implicit-def: $vgpr1
	s_wait_alu 0xfffe
	s_xor_b32 exec_lo, exec_lo, s1
	s_cbranch_execz .LBB0_15
; %bb.12:
	v_mad_co_u64_u32 v[2:3], null, s8, v27, 0
	v_add_nc_u32_e32 v6, 0x190, v27
	v_add_nc_u32_e32 v14, 0x640, v27
	v_mad_co_u64_u32 v[32:33], null, s8, v55, 0
	v_add_nc_u32_e32 v34, 0x41a, v27
	s_delay_alu instid0(VALU_DEP_4) | instskip(SKIP_4) | instid1(VALU_DEP_3)
	v_mad_co_u64_u32 v[4:5], null, s8, v6, 0
	v_dual_mov_b32 v0, v3 :: v_dual_add_nc_u32 v11, 0x320, v27
	s_mov_b32 s2, exec_lo
                                        ; implicit-def: $vgpr48
                                        ; implicit-def: $vgpr50
                                        ; implicit-def: $vgpr52
                                        ; implicit-def: $vgpr44
	v_add_nc_u32_e32 v25, 0x52d, v27
	v_add_nc_u32_e32 v37, 0x5aa, v27
	v_mad_co_u64_u32 v[0:1], null, s9, v27, v[0:1]
	v_add_nc_u32_e32 v12, 0x4b0, v27
	v_mad_co_u64_u32 v[7:8], null, s8, v11, 0
	v_mov_b32_e32 v1, v5
	s_delay_alu instid0(VALU_DEP_4) | instskip(NEXT) | instid1(VALU_DEP_4)
	v_mov_b32_e32 v3, v0
	v_mad_co_u64_u32 v[9:10], null, s8, v12, 0
	s_delay_alu instid0(VALU_DEP_3)
	v_mad_co_u64_u32 v[5:6], null, s9, v6, v[1:2]
	v_add_co_u32 v1, s0, s10, v28
	v_mov_b32_e32 v0, v8
	v_lshlrev_b64_e32 v[2:3], 3, v[2:3]
	v_mov_b32_e32 v8, v10
	s_wait_alu 0xf1ff
	v_add_co_ci_u32_e64 v6, s0, s11, v29, s0
	v_mad_co_u64_u32 v[10:11], null, s9, v11, v[0:1]
	s_delay_alu instid0(VALU_DEP_3)
	v_mad_co_u64_u32 v[11:12], null, s9, v12, v[8:9]
	v_mad_co_u64_u32 v[12:13], null, s8, v14, 0
	v_lshlrev_b64_e32 v[4:5], 3, v[4:5]
	v_add_co_u32 v2, s0, v1, v2
	v_mov_b32_e32 v8, v10
	v_dual_mov_b32 v10, v11 :: v_dual_add_nc_u32 v11, 0x20d, v27
	v_mov_b32_e32 v0, v13
	s_wait_alu 0xf1ff
	v_add_co_ci_u32_e64 v3, s0, v6, v3, s0
	v_lshlrev_b64_e32 v[7:8], 3, v[7:8]
	v_add_co_u32 v4, s0, v1, v4
	v_mad_co_u64_u32 v[13:14], null, s9, v14, v[0:1]
	v_mad_co_u64_u32 v[14:15], null, s8, v56, 0
	v_lshlrev_b64_e32 v[9:10], 3, v[9:10]
	s_wait_alu 0xf1ff
	v_add_co_ci_u32_e64 v5, s0, v6, v5, s0
	v_mad_co_u64_u32 v[23:24], null, s8, v11, 0
	v_add_co_u32 v7, s0, v1, v7
	v_mov_b32_e32 v0, v15
	s_wait_alu 0xf1ff
	v_add_co_ci_u32_e64 v8, s0, v6, v8, s0
	v_add_co_u32 v9, s0, v1, v9
	s_delay_alu instid0(VALU_DEP_3)
	v_mad_co_u64_u32 v[15:16], null, s9, v56, v[0:1]
	v_add_nc_u32_e32 v16, 0x39d, v27
	s_wait_alu 0xf1ff
	v_add_co_ci_u32_e64 v10, s0, v6, v10, s0
	s_clause 0x3
	global_load_b64 v[2:3], v[2:3], off
	global_load_b64 v[19:20], v[4:5], off
	;; [unrolled: 1-line block ×4, first 2 shown]
	v_mov_b32_e32 v0, v24
	v_mad_co_u64_u32 v[7:8], null, s8, v16, 0
	v_lshlrev_b64_e32 v[4:5], 3, v[12:13]
	v_mad_co_u64_u32 v[12:13], null, s8, v25, 0
	s_delay_alu instid0(VALU_DEP_4)
	v_mad_co_u64_u32 v[9:10], null, s9, v11, v[0:1]
	v_lshlrev_b64_e32 v[10:11], 3, v[14:15]
	v_mov_b32_e32 v0, v8
	v_add_co_u32 v4, s0, v1, v4
	s_wait_alu 0xf1ff
	v_add_co_ci_u32_e64 v5, s0, v6, v5, s0
	v_mov_b32_e32 v24, v9
	v_mad_co_u64_u32 v[8:9], null, s9, v16, v[0:1]
	v_add_co_u32 v9, s0, v1, v10
	s_wait_alu 0xf1ff
	v_add_co_ci_u32_e64 v10, s0, v6, v11, s0
	v_add_nc_u32_e32 v11, 0x6bd, v27
	v_lshlrev_b64_e32 v[14:15], 3, v[23:24]
	v_mov_b32_e32 v0, v13
	v_lshlrev_b64_e32 v[7:8], 3, v[7:8]
	v_add_nc_u32_e32 v16, 0x28a, v27
	v_mad_co_u64_u32 v[23:24], null, s8, v11, 0
	s_delay_alu instid0(VALU_DEP_4) | instskip(SKIP_3) | instid1(VALU_DEP_4)
	v_mad_co_u64_u32 v[25:26], null, s9, v25, v[0:1]
	v_add_co_u32 v14, s0, v1, v14
	s_wait_alu 0xf1ff
	v_add_co_ci_u32_e64 v15, s0, v6, v15, s0
	v_mov_b32_e32 v0, v24
	v_add_co_u32 v7, s0, v1, v7
	s_wait_alu 0xf1ff
	v_add_co_ci_u32_e64 v8, s0, v6, v8, s0
	v_mov_b32_e32 v13, v25
	v_mad_co_u64_u32 v[24:25], null, s9, v11, v[0:1]
	v_mov_b32_e32 v0, v33
	s_clause 0x3
	global_load_b64 v[40:41], v[4:5], off
	global_load_b64 v[4:5], v[9:10], off
	;; [unrolled: 1-line block ×4, first 2 shown]
	v_mad_co_u64_u32 v[9:10], null, s8, v16, 0
	v_lshlrev_b64_e32 v[7:8], 3, v[12:13]
	v_mad_co_u64_u32 v[11:12], null, s9, v55, v[0:1]
	v_mad_co_u64_u32 v[12:13], null, s8, v34, 0
	v_lshlrev_b64_e32 v[14:15], 3, v[23:24]
	v_mov_b32_e32 v0, v10
	v_mad_co_u64_u32 v[23:24], null, s8, v37, 0
	v_mov_b32_e32 v33, v11
	v_add_co_u32 v7, s0, v1, v7
	s_delay_alu instid0(VALU_DEP_4) | instskip(SKIP_1) | instid1(VALU_DEP_4)
	v_mad_co_u64_u32 v[10:11], null, s9, v16, v[0:1]
	v_dual_mov_b32 v0, v13 :: v_dual_add_nc_u32 v11, 0x73a, v27
	v_lshlrev_b64_e32 v[32:33], 3, v[32:33]
	s_wait_alu 0xf1ff
	v_add_co_ci_u32_e64 v8, s0, v6, v8, s0
	s_delay_alu instid0(VALU_DEP_3)
	v_mad_co_u64_u32 v[34:35], null, s9, v34, v[0:1]
	v_mad_co_u64_u32 v[35:36], null, s8, v11, 0
	v_mov_b32_e32 v0, v24
	v_add_co_u32 v14, s0, v1, v14
	v_lshlrev_b64_e32 v[9:10], 3, v[9:10]
	v_mov_b32_e32 v13, v34
	s_delay_alu instid0(VALU_DEP_4) | instskip(SKIP_4) | instid1(VALU_DEP_3)
	v_mad_co_u64_u32 v[37:38], null, s9, v37, v[0:1]
	v_mov_b32_e32 v0, v36
	s_wait_alu 0xf1ff
	v_add_co_ci_u32_e64 v15, s0, v6, v15, s0
	v_add_co_u32 v32, s0, v1, v32
	v_mad_co_u64_u32 v[38:39], null, s9, v11, v[0:1]
	v_mov_b32_e32 v24, v37
	v_lshlrev_b64_e32 v[11:12], 3, v[12:13]
	s_wait_alu 0xf1ff
	v_add_co_ci_u32_e64 v33, s0, v6, v33, s0
	v_add_co_u32 v9, s0, v1, v9
	v_mov_b32_e32 v36, v38
	v_lshlrev_b64_e32 v[23:24], 3, v[23:24]
	s_wait_alu 0xf1ff
	v_add_co_ci_u32_e64 v10, s0, v6, v10, s0
	v_add_co_u32 v11, s0, v1, v11
	v_lshlrev_b64_e32 v[34:35], 3, v[35:36]
	s_wait_alu 0xf1ff
	v_add_co_ci_u32_e64 v12, s0, v6, v12, s0
	v_add_co_u32 v23, s0, v1, v23
	s_wait_alu 0xf1ff
	v_add_co_ci_u32_e64 v24, s0, v6, v24, s0
	v_add_co_u32 v38, s0, v1, v34
	s_wait_alu 0xf1ff
	v_add_co_ci_u32_e64 v39, s0, v6, v35, s0
	s_clause 0x6
	global_load_b64 v[42:43], v[7:8], off
	global_load_b64 v[46:47], v[14:15], off
	;; [unrolled: 1-line block ×7, first 2 shown]
                                        ; implicit-def: $vgpr0
	v_cmpx_gt_u32_e32 25, v27
	s_cbranch_execz .LBB0_14
; %bb.13:
	v_add_nc_u32_e32 v23, 0x177, v27
	v_add_nc_u32_e32 v48, 0x307, v27
	;; [unrolled: 1-line block ×4, first 2 shown]
	s_delay_alu instid0(VALU_DEP_4) | instskip(NEXT) | instid1(VALU_DEP_4)
	v_mad_co_u64_u32 v[7:8], null, s8, v23, 0
	v_mad_co_u64_u32 v[9:10], null, s8, v48, 0
	v_add_nc_u32_e32 v51, 0x627, v27
	v_mad_co_u64_u32 v[11:12], null, s8, v50, 0
	v_mad_co_u64_u32 v[44:45], null, s8, v52, 0
	v_mov_b32_e32 v0, v8
	v_mov_b32_e32 v8, v10
	v_mad_co_u64_u32 v[15:16], null, s8, v51, 0
	s_delay_alu instid0(VALU_DEP_3) | instskip(SKIP_1) | instid1(VALU_DEP_4)
	v_mad_co_u64_u32 v[23:24], null, s9, v23, v[0:1]
	v_mov_b32_e32 v0, v12
	v_mad_co_u64_u32 v[48:49], null, s9, v48, v[8:9]
	s_delay_alu instid0(VALU_DEP_2) | instskip(SKIP_4) | instid1(VALU_DEP_4)
	v_mad_co_u64_u32 v[49:50], null, s9, v50, v[0:1]
	v_mov_b32_e32 v0, v16
	v_mov_b32_e32 v16, v45
	;; [unrolled: 1-line block ×4, first 2 shown]
	v_mad_co_u64_u32 v[23:24], null, s9, v51, v[0:1]
	v_mov_b32_e32 v12, v49
	s_wait_loadcnt 0xb
	v_mad_co_u64_u32 v[48:49], null, s9, v52, v[16:17]
	v_lshlrev_b64_e32 v[7:8], 3, v[7:8]
	v_lshlrev_b64_e32 v[9:10], 3, v[9:10]
	;; [unrolled: 1-line block ×3, first 2 shown]
	v_mov_b32_e32 v16, v23
	s_delay_alu instid0(VALU_DEP_4)
	v_add_co_u32 v7, s0, v1, v7
	v_mov_b32_e32 v45, v48
	s_wait_alu 0xf1ff
	v_add_co_ci_u32_e64 v8, s0, v6, v8, s0
	v_add_co_u32 v9, s0, v1, v9
	v_lshlrev_b64_e32 v[15:16], 3, v[15:16]
	s_wait_alu 0xf1ff
	v_add_co_ci_u32_e64 v10, s0, v6, v10, s0
	v_add_co_u32 v11, s0, v1, v11
	v_lshlrev_b64_e32 v[23:24], 3, v[44:45]
	s_wait_alu 0xf1ff
	v_add_co_ci_u32_e64 v12, s0, v6, v12, s0
	v_add_co_u32 v15, s0, v1, v15
	s_wait_alu 0xf1ff
	v_add_co_ci_u32_e64 v16, s0, v6, v16, s0
	v_add_co_u32 v23, s0, v1, v23
	s_wait_alu 0xf1ff
	v_add_co_ci_u32_e64 v24, s0, v6, v24, s0
	s_clause 0x4
	global_load_b64 v[0:1], v[7:8], off
	global_load_b64 v[48:49], v[9:10], off
	;; [unrolled: 1-line block ×5, first 2 shown]
.LBB0_14:
	s_wait_alu 0xfffe
	s_or_b32 exec_lo, exec_lo, s2
	v_mov_b32_e32 v54, v27
.LBB0_15:
	s_or_b32 exec_lo, exec_lo, s1
	s_wait_loadcnt 0xb
	v_dual_add_f32 v6, v21, v17 :: v_dual_add_f32 v7, v2, v19
	s_wait_loadcnt 0xa
	v_dual_sub_f32 v8, v20, v41 :: v_dual_sub_f32 v9, v22, v18
	v_dual_sub_f32 v10, v19, v21 :: v_dual_sub_f32 v15, v21, v19
	s_delay_alu instid0(VALU_DEP_3)
	v_fma_f32 v6, -0.5, v6, v2
	v_dual_sub_f32 v11, v40, v17 :: v_dual_add_f32 v12, v19, v40
	v_add_f32_e32 v7, v7, v21
	s_wait_loadcnt 0x8
	v_add_f32_e32 v23, v4, v25
	v_fmamk_f32 v16, v8, 0xbf737871, v6
	v_add_f32_e32 v10, v10, v11
	v_dual_fmac_f32 v2, -0.5, v12 :: v_dual_add_f32 v7, v7, v17
	v_sub_f32_e32 v11, v17, v40
	v_fmac_f32_e32 v6, 0x3f737871, v8
	v_fmac_f32_e32 v16, 0xbf167918, v9
	s_delay_alu instid0(VALU_DEP_4) | instskip(NEXT) | instid1(VALU_DEP_3)
	v_dual_fmamk_f32 v12, v9, 0x3f737871, v2 :: v_dual_add_f32 v7, v7, v40
	v_dual_add_f32 v11, v15, v11 :: v_dual_fmac_f32 v6, 0x3f167918, v9
	s_delay_alu instid0(VALU_DEP_3)
	v_fmac_f32_e32 v16, 0x3e9e377a, v10
	s_wait_loadcnt 0x1
	v_dual_fmac_f32 v2, 0xbf737871, v9 :: v_dual_add_f32 v59, v34, v36
	v_add_f32_e32 v9, v23, v30
	v_sub_f32_e32 v23, v26, v47
	v_add_f32_e32 v24, v30, v42
	v_fmac_f32_e32 v6, 0x3e9e377a, v10
	v_dual_fmac_f32 v12, 0xbf167918, v8 :: v_dual_sub_f32 v57, v25, v30
	v_fma_f32 v60, -0.5, v59, v13
	s_delay_alu instid0(VALU_DEP_4)
	v_fma_f32 v15, -0.5, v24, v4
	v_add_f32_e32 v10, v25, v46
	s_wait_loadcnt 0x0
	v_add_f32_e32 v62, v32, v38
	v_sub_f32_e32 v66, v51, v53
	v_cmp_gt_u32_e64 s0, 25, v27
	v_dual_sub_f32 v61, v38, v36 :: v_dual_fmac_f32 v4, -0.5, v10
	v_sub_f32_e32 v58, v46, v42
	v_sub_f32_e32 v59, v32, v34
	;; [unrolled: 1-line block ×4, first 2 shown]
	s_delay_alu instid0(VALU_DEP_4)
	v_dual_sub_f32 v67, v52, v44 :: v_dual_add_f32 v10, v57, v58
	v_dual_sub_f32 v24, v31, v43 :: v_dual_sub_f32 v57, v30, v25
	v_sub_f32_e32 v58, v42, v46
	v_fmac_f32_e32 v2, 0x3f167918, v8
	v_dual_add_f32 v8, v9, v42 :: v_dual_fmamk_f32 v9, v23, 0xbf737871, v15
	v_fmac_f32_e32 v15, 0x3f737871, v23
	s_delay_alu instid0(VALU_DEP_3) | instskip(SKIP_1) | instid1(VALU_DEP_3)
	v_dual_add_f32 v57, v57, v58 :: v_dual_fmac_f32 v2, 0x3e9e377a, v11
	v_dual_sub_f32 v58, v33, v39 :: v_dual_add_f32 v59, v59, v61
	v_fmac_f32_e32 v15, 0x3f167918, v24
	v_add_f32_e32 v61, v52, v50
	s_delay_alu instid0(VALU_DEP_2)
	v_fmac_f32_e32 v15, 0x3e9e377a, v10
	v_fmac_f32_e32 v9, 0xbf167918, v24
	;; [unrolled: 1-line block ×3, first 2 shown]
	v_fmamk_f32 v11, v24, 0x3f737871, v4
	v_fmac_f32_e32 v4, 0xbf737871, v24
	v_add_f32_e32 v24, v13, v32
	v_add_f32_e32 v8, v8, v46
	v_fmac_f32_e32 v13, -0.5, v62
	v_fmac_f32_e32 v11, 0xbf167918, v23
	v_fmac_f32_e32 v4, 0x3f167918, v23
	v_fmamk_f32 v23, v58, 0xbf737871, v60
	v_fmac_f32_e32 v9, 0x3e9e377a, v10
	v_add_f32_e32 v10, v24, v34
	v_sub_f32_e32 v24, v35, v37
	v_fmac_f32_e32 v60, 0x3f737871, v58
	v_dual_sub_f32 v62, v34, v32 :: v_dual_fmac_f32 v11, 0x3e9e377a, v57
	v_fmac_f32_e32 v4, 0x3e9e377a, v57
	s_delay_alu instid0(VALU_DEP_4) | instskip(NEXT) | instid1(VALU_DEP_4)
	v_fmac_f32_e32 v23, 0xbf167918, v24
	v_fmac_f32_e32 v60, 0x3f167918, v24
	s_delay_alu instid0(VALU_DEP_4) | instskip(NEXT) | instid1(VALU_DEP_3)
	v_dual_add_f32 v62, v62, v63 :: v_dual_add_f32 v63, v44, v48
	v_dual_fmac_f32 v23, 0x3e9e377a, v59 :: v_dual_add_f32 v10, v10, v36
	s_delay_alu instid0(VALU_DEP_3) | instskip(SKIP_1) | instid1(VALU_DEP_3)
	v_dual_fmac_f32 v60, 0x3e9e377a, v59 :: v_dual_add_f32 v59, v48, v0
	v_fmamk_f32 v57, v24, 0x3f737871, v13
	v_dual_fmac_f32 v13, 0xbf737871, v24 :: v_dual_add_f32 v10, v10, v38
	s_delay_alu instid0(VALU_DEP_3) | instskip(SKIP_1) | instid1(VALU_DEP_3)
	v_add_f32_e32 v24, v50, v59
	v_fma_f32 v59, -0.5, v61, v0
	v_fmac_f32_e32 v13, 0x3f167918, v58
	v_dual_fmac_f32 v57, 0xbf167918, v58 :: v_dual_fmac_f32 v0, -0.5, v63
	v_sub_f32_e32 v63, v50, v48
	s_delay_alu instid0(VALU_DEP_4) | instskip(SKIP_3) | instid1(VALU_DEP_3)
	v_fmamk_f32 v61, v65, 0xbf737871, v59
	v_dual_fmac_f32 v59, 0x3f737871, v65 :: v_dual_add_f32 v24, v52, v24
	v_fmac_f32_e32 v13, 0x3e9e377a, v62
	v_dual_fmac_f32 v57, 0x3e9e377a, v62 :: v_dual_sub_f32 v62, v44, v52
	v_dual_fmac_f32 v59, 0x3f167918, v66 :: v_dual_add_f32 v58, v44, v24
	v_fmac_f32_e32 v61, 0xbf167918, v66
	v_sub_f32_e32 v24, v48, v50
	v_fmamk_f32 v64, v66, 0x3f737871, v0
	v_fmac_f32_e32 v0, 0xbf737871, v66
	v_mad_i32_i24 v66, v55, 20, 0
	s_delay_alu instid0(VALU_DEP_4) | instskip(NEXT) | instid1(VALU_DEP_4)
	v_add_f32_e32 v24, v62, v24
	v_fmac_f32_e32 v64, 0xbf167918, v65
	v_add_f32_e32 v62, v67, v63
	v_fmac_f32_e32 v0, 0x3f167918, v65
	v_mad_u32_u24 v67, v27, 20, 0
	v_fmac_f32_e32 v61, 0x3e9e377a, v24
	s_delay_alu instid0(VALU_DEP_4) | instskip(NEXT) | instid1(VALU_DEP_4)
	v_dual_fmac_f32 v59, 0x3e9e377a, v24 :: v_dual_fmac_f32 v64, 0x3e9e377a, v62
	v_fmac_f32_e32 v0, 0x3e9e377a, v62
	v_mad_i32_i24 v65, v56, 20, 0
	ds_store_2addr_b32 v67, v7, v16 offset1:1
	ds_store_2addr_b32 v67, v12, v2 offset0:2 offset1:3
	ds_store_b32 v67, v6 offset:16
	ds_store_2addr_b32 v65, v8, v9 offset1:1
	ds_store_2addr_b32 v65, v11, v4 offset0:2 offset1:3
	ds_store_b32 v65, v15 offset:16
	;; [unrolled: 3-line block ×3, first 2 shown]
	s_and_saveexec_b32 s1, s0
	s_cbranch_execz .LBB0_17
; %bb.16:
	v_add_nc_u32_e32 v2, 0x1d54, v67
	v_add_nc_u32_e32 v4, 0x1d4c, v67
	ds_store_2addr_b32 v2, v64, v0 offset1:1
	ds_store_2addr_b32 v4, v58, v61 offset1:1
	ds_store_b32 v67, v59 offset:7516
.LBB0_17:
	s_wait_alu 0xfffe
	s_or_b32 exec_lo, exec_lo, s1
	v_lshlrev_b32_e32 v2, 4, v27
	v_lshlrev_b32_e32 v4, 4, v56
	global_wb scope:SCOPE_SE
	s_wait_dscnt 0x0
	s_barrier_signal -1
	s_barrier_wait -1
	v_sub_nc_u32_e32 v57, v67, v2
	v_lshlrev_b32_e32 v2, 4, v55
	global_inv scope:SCOPE_SE
	v_sub_nc_u32_e32 v60, v65, v4
	v_add_nc_u32_e32 v6, 0x600, v57
	v_add_nc_u32_e32 v7, 0xa00, v57
	;; [unrolled: 1-line block ×5, first 2 shown]
	ds_load_2addr_b32 v[23:24], v6 offset0:16 offset1:141
	ds_load_2addr_b32 v[10:11], v7 offset0:10 offset1:160
	;; [unrolled: 1-line block ×3, first 2 shown]
	v_add_nc_u32_e32 v8, 0x1a00, v57
	v_sub_nc_u32_e32 v68, v66, v2
	ds_load_2addr_b32 v[6:7], v9 offset0:42 offset1:192
	ds_load_2addr_b32 v[12:13], v12 offset0:29 offset1:154
	;; [unrolled: 1-line block ×3, first 2 shown]
	ds_load_b32 v63, v57
	ds_load_b32 v62, v60
	;; [unrolled: 1-line block ×3, first 2 shown]
	s_and_saveexec_b32 s1, s0
	s_cbranch_execz .LBB0_19
; %bb.18:
	ds_load_b32 v58, v57 offset:1500
	ds_load_b32 v61, v57 offset:3100
	;; [unrolled: 1-line block ×5, first 2 shown]
.LBB0_19:
	s_wait_alu 0xfffe
	s_or_b32 exec_lo, exec_lo, s1
	v_add_f32_e32 v69, v22, v18
	v_sub_nc_u32_e32 v68, 0, v4
	v_add_f32_e32 v4, v3, v20
	v_dual_sub_f32 v19, v19, v40 :: v_dual_sub_f32 v70, v41, v18
	s_delay_alu instid0(VALU_DEP_4) | instskip(NEXT) | instid1(VALU_DEP_3)
	v_fma_f32 v40, -0.5, v69, v3
	v_dual_sub_f32 v21, v21, v17 :: v_dual_add_f32 v4, v4, v22
	v_sub_f32_e32 v69, v20, v22
	v_sub_nc_u32_e32 v17, 0, v2
	s_delay_alu instid0(VALU_DEP_4) | instskip(SKIP_1) | instid1(VALU_DEP_4)
	v_dual_fmamk_f32 v72, v19, 0x3f737871, v40 :: v_dual_add_f32 v71, v20, v41
	v_sub_f32_e32 v20, v22, v20
	v_dual_add_f32 v2, v69, v70 :: v_dual_add_f32 v69, v31, v43
	s_delay_alu instid0(VALU_DEP_3) | instskip(SKIP_3) | instid1(VALU_DEP_4)
	v_dual_add_f32 v4, v4, v18 :: v_dual_fmac_f32 v3, -0.5, v71
	v_dual_fmac_f32 v40, 0xbf737871, v19 :: v_dual_sub_f32 v25, v25, v46
	v_fmac_f32_e32 v72, 0x3f167918, v21
	v_sub_f32_e32 v30, v30, v42
	v_fmamk_f32 v22, v21, 0xbf737871, v3
	s_delay_alu instid0(VALU_DEP_4)
	v_fmac_f32_e32 v40, 0xbf167918, v21
	v_fmac_f32_e32 v3, 0x3f737871, v21
	v_add_f32_e32 v4, v4, v41
	v_fma_f32 v21, -0.5, v69, v5
	v_dual_sub_f32 v18, v18, v41 :: v_dual_add_f32 v41, v5, v26
	v_fmac_f32_e32 v72, 0x3e9e377a, v2
	v_fmac_f32_e32 v40, 0x3e9e377a, v2
	global_wb scope:SCOPE_SE
	s_wait_dscnt 0x0
	v_add_f32_e32 v18, v20, v18
	v_add_f32_e32 v20, v41, v31
	v_fmac_f32_e32 v3, 0xbf167918, v19
	v_sub_f32_e32 v41, v26, v31
	v_fmac_f32_e32 v22, 0x3f167918, v19
	v_fmamk_f32 v19, v25, 0x3f737871, v21
	v_dual_fmac_f32 v21, 0xbf737871, v25 :: v_dual_sub_f32 v42, v47, v43
	v_dual_add_f32 v2, v20, v43 :: v_dual_fmac_f32 v3, 0x3e9e377a, v18
	s_delay_alu instid0(VALU_DEP_3) | instskip(SKIP_1) | instid1(VALU_DEP_4)
	v_fmac_f32_e32 v19, 0x3f167918, v30
	v_fmac_f32_e32 v22, 0x3e9e377a, v18
	v_add_f32_e32 v18, v41, v42
	v_dual_add_f32 v20, v26, v47 :: v_dual_add_f32 v41, v35, v37
	s_barrier_signal -1
	s_barrier_wait -1
	s_delay_alu instid0(VALU_DEP_2) | instskip(NEXT) | instid1(VALU_DEP_2)
	v_fmac_f32_e32 v19, 0x3e9e377a, v18
	v_dual_fmac_f32 v5, -0.5, v20 :: v_dual_add_f32 v2, v2, v47
	v_fma_f32 v41, -0.5, v41, v14
	v_sub_f32_e32 v26, v31, v26
	s_delay_alu instid0(VALU_DEP_3)
	v_dual_sub_f32 v31, v43, v47 :: v_dual_fmamk_f32 v20, v30, 0xbf737871, v5
	v_fmac_f32_e32 v5, 0x3f737871, v30
	global_inv scope:SCOPE_SE
	v_fmac_f32_e32 v5, 0xbf167918, v25
	v_dual_fmac_f32 v21, 0xbf167918, v30 :: v_dual_add_f32 v26, v26, v31
	v_dual_sub_f32 v31, v32, v38 :: v_dual_fmac_f32 v20, 0x3f167918, v25
	s_delay_alu instid0(VALU_DEP_1) | instskip(NEXT) | instid1(VALU_DEP_3)
	v_dual_sub_f32 v32, v33, v35 :: v_dual_fmamk_f32 v25, v31, 0x3f737871, v41
	v_dual_fmac_f32 v21, 0x3e9e377a, v18 :: v_dual_add_f32 v30, v14, v33
	s_delay_alu instid0(VALU_DEP_4) | instskip(SKIP_1) | instid1(VALU_DEP_3)
	v_fmac_f32_e32 v5, 0x3e9e377a, v26
	v_fmac_f32_e32 v41, 0xbf737871, v31
	v_add_f32_e32 v18, v30, v35
	v_sub_f32_e32 v30, v34, v36
	v_add_f32_e32 v36, v33, v39
	v_sub_f32_e32 v34, v39, v37
	v_sub_f32_e32 v33, v35, v33
	v_sub_f32_e32 v35, v51, v49
	s_delay_alu instid0(VALU_DEP_4) | instskip(NEXT) | instid1(VALU_DEP_4)
	v_dual_fmac_f32 v25, 0x3f167918, v30 :: v_dual_fmac_f32 v14, -0.5, v36
	v_add_f32_e32 v32, v32, v34
	v_fmac_f32_e32 v41, 0xbf167918, v30
	v_fmac_f32_e32 v20, 0x3e9e377a, v26
	v_sub_f32_e32 v34, v37, v39
	v_fmamk_f32 v26, v30, 0xbf737871, v14
	v_fmac_f32_e32 v14, 0x3f737871, v30
	v_add_f32_e32 v18, v18, v37
	v_sub_f32_e32 v36, v53, v45
	s_delay_alu instid0(VALU_DEP_4) | instskip(NEXT) | instid1(VALU_DEP_4)
	v_dual_add_f32 v33, v33, v34 :: v_dual_fmac_f32 v26, 0x3f167918, v31
	v_dual_fmac_f32 v14, 0xbf167918, v31 :: v_dual_add_f32 v31, v45, v49
	v_fmac_f32_e32 v25, 0x3e9e377a, v32
	v_fmac_f32_e32 v41, 0x3e9e377a, v32
	v_sub_f32_e32 v34, v50, v52
	v_add_f32_e32 v32, v53, v51
	v_add_f32_e32 v18, v18, v39
	;; [unrolled: 1-line block ×3, first 2 shown]
	v_fmac_f32_e32 v26, 0x3e9e377a, v33
	v_fmac_f32_e32 v14, 0x3e9e377a, v33
	v_fma_f32 v38, -0.5, v32, v1
	v_fmac_f32_e32 v1, -0.5, v31
	v_sub_f32_e32 v31, v49, v51
	v_sub_f32_e32 v33, v45, v53
	ds_store_2addr_b32 v67, v4, v72 offset1:1
	ds_store_2addr_b32 v67, v22, v3 offset0:2 offset1:3
	ds_store_b32 v67, v40 offset:16
	ds_store_2addr_b32 v65, v2, v19 offset1:1
	ds_store_2addr_b32 v65, v20, v5 offset0:2 offset1:3
	ds_store_b32 v65, v21 offset:16
	;; [unrolled: 3-line block ×3, first 2 shown]
	v_add_f32_e32 v31, v33, v31
	v_add_f32_e32 v33, v36, v35
	v_sub_f32_e32 v32, v48, v44
	s_delay_alu instid0(VALU_DEP_1) | instskip(NEXT) | instid1(VALU_DEP_1)
	v_fmamk_f32 v39, v32, 0x3f737871, v38
	v_fmac_f32_e32 v39, 0x3f167918, v34
	s_delay_alu instid0(VALU_DEP_1) | instskip(SKIP_1) | instid1(VALU_DEP_1)
	v_fmac_f32_e32 v39, 0x3e9e377a, v31
	v_fmac_f32_e32 v38, 0xbf737871, v32
	;; [unrolled: 1-line block ×3, first 2 shown]
	s_delay_alu instid0(VALU_DEP_1) | instskip(SKIP_3) | instid1(VALU_DEP_2)
	v_fmac_f32_e32 v38, 0x3e9e377a, v31
	v_add_nc_u32_e32 v31, 0x177, v27
	v_fmamk_f32 v42, v34, 0xbf737871, v1
	v_fmac_f32_e32 v1, 0x3f737871, v34
	v_fmac_f32_e32 v42, 0x3f167918, v32
	s_delay_alu instid0(VALU_DEP_2) | instskip(NEXT) | instid1(VALU_DEP_2)
	v_dual_fmac_f32 v1, 0xbf167918, v32 :: v_dual_add_f32 v30, v51, v30
	v_fmac_f32_e32 v42, 0x3e9e377a, v33
	s_delay_alu instid0(VALU_DEP_2) | instskip(NEXT) | instid1(VALU_DEP_1)
	v_dual_fmac_f32 v1, 0x3e9e377a, v33 :: v_dual_add_f32 v30, v53, v30
	v_add_f32_e32 v30, v45, v30
	s_and_saveexec_b32 s1, s0
	s_cbranch_execz .LBB0_21
; %bb.20:
	v_mad_u32_u24 v2, v31, 20, 0
	ds_store_2addr_b32 v2, v30, v39 offset1:1
	ds_store_2addr_b32 v2, v42, v1 offset0:2 offset1:3
	ds_store_b32 v2, v38 offset:16
.LBB0_21:
	s_wait_alu 0xfffe
	s_or_b32 exec_lo, exec_lo, s1
	v_add_nc_u32_e32 v2, 0x600, v57
	v_add_nc_u32_e32 v3, 0xa00, v57
	;; [unrolled: 1-line block ×8, first 2 shown]
	global_wb scope:SCOPE_SE
	s_wait_dscnt 0x0
	s_barrier_signal -1
	s_barrier_wait -1
	global_inv scope:SCOPE_SE
	ds_load_2addr_b32 v[25:26], v2 offset0:16 offset1:141
	ds_load_2addr_b32 v[2:3], v3 offset0:10 offset1:160
	;; [unrolled: 1-line block ×6, first 2 shown]
	ds_load_b32 v37, v57
	ds_load_b32 v36, v44
	;; [unrolled: 1-line block ×3, first 2 shown]
	s_and_saveexec_b32 s1, s0
	s_cbranch_execz .LBB0_23
; %bb.22:
	ds_load_b32 v30, v57 offset:1500
	ds_load_b32 v39, v57 offset:3100
	;; [unrolled: 1-line block ×5, first 2 shown]
.LBB0_23:
	s_wait_alu 0xfffe
	s_or_b32 exec_lo, exec_lo, s1
	v_and_b32_e32 v35, 0xff, v27
	s_delay_alu instid0(VALU_DEP_1) | instskip(NEXT) | instid1(VALU_DEP_1)
	v_mul_lo_u16 v33, 0xcd, v35
	v_lshrrev_b16 v40, 10, v33
	s_delay_alu instid0(VALU_DEP_1) | instskip(NEXT) | instid1(VALU_DEP_1)
	v_mul_lo_u16 v34, v40, 5
	v_sub_nc_u16 v34, v27, v34
	s_delay_alu instid0(VALU_DEP_1) | instskip(NEXT) | instid1(VALU_DEP_1)
	v_and_b32_e32 v46, 0xff, v34
	v_lshlrev_b32_e32 v47, 5, v46
	s_clause 0x1
	global_load_b128 v[50:53], v47, s[4:5]
	global_load_b128 v[66:69], v47, s[4:5] offset:16
	v_and_b32_e32 v32, 0xff, v56
	s_delay_alu instid0(VALU_DEP_1) | instskip(NEXT) | instid1(VALU_DEP_1)
	v_mul_lo_u16 v33, 0xcd, v32
	v_lshrrev_b16 v41, 10, v33
	s_delay_alu instid0(VALU_DEP_1) | instskip(SKIP_1) | instid1(VALU_DEP_2)
	v_mul_lo_u16 v43, v41, 5
	v_and_b32_e32 v41, 0xffff, v41
	v_sub_nc_u16 v43, v56, v43
	s_wait_loadcnt_dscnt 0x108
	v_mul_f32_e32 v76, v25, v51
	s_wait_loadcnt_dscnt 0x6
	v_mul_f32_e32 v78, v21, v67
	v_and_b32_e32 v43, 0xff, v43
	v_dual_mul_f32 v77, v3, v53 :: v_dual_lshlrev_b32 v46, 2, v46
	v_fmac_f32_e32 v76, v23, v50
	s_delay_alu instid0(VALU_DEP_3)
	v_dual_fmac_f32 v78, v15, v66 :: v_dual_lshlrev_b32 v65, 5, v43
	s_wait_dscnt 0x5
	v_mul_f32_e32 v79, v5, v69
	s_clause 0x1
	global_load_b128 v[80:83], v65, s[4:5]
	global_load_b128 v[84:87], v65, s[4:5] offset:16
	v_and_b32_e32 v33, 0xffff, v55
	v_fmac_f32_e32 v79, v7, v68
	s_delay_alu instid0(VALU_DEP_2) | instskip(NEXT) | instid1(VALU_DEP_1)
	v_mul_u32_u24_e32 v34, 0xcccd, v33
	v_lshrrev_b32_e32 v48, 18, v34
	v_and_b32_e32 v34, 0xffff, v31
	s_delay_alu instid0(VALU_DEP_2) | instskip(NEXT) | instid1(VALU_DEP_2)
	v_mul_lo_u16 v49, v48, 5
	v_mul_u32_u24_e32 v47, 0xcccd, v34
	v_mul_u32_u24_e32 v71, 0x64, v48
	;; [unrolled: 1-line block ×3, first 2 shown]
	s_delay_alu instid0(VALU_DEP_4) | instskip(NEXT) | instid1(VALU_DEP_4)
	v_sub_nc_u16 v49, v55, v49
	v_lshrrev_b32_e32 v47, 18, v47
	s_delay_alu instid0(VALU_DEP_2) | instskip(NEXT) | instid1(VALU_DEP_2)
	v_and_b32_e32 v49, 0xffff, v49
	v_mul_lo_u16 v70, v47, 5
	s_delay_alu instid0(VALU_DEP_2) | instskip(NEXT) | instid1(VALU_DEP_2)
	v_lshlrev_b32_e32 v65, 5, v49
	v_sub_nc_u16 v70, v31, v70
	s_clause 0x1
	global_load_b128 v[88:91], v65, s[4:5]
	global_load_b128 v[92:95], v65, s[4:5] offset:16
	v_and_b32_e32 v70, 0xffff, v70
	s_delay_alu instid0(VALU_DEP_1)
	v_lshlrev_b32_e32 v65, 5, v70
	s_clause 0x1
	global_load_b128 v[96:99], v65, s[4:5]
	global_load_b128 v[100:103], v65, s[4:5] offset:16
	v_and_b32_e32 v65, 0xffff, v40
	v_mul_lo_u16 v40, v47, 25
	global_wb scope:SCOPE_SE
	s_wait_loadcnt_dscnt 0x0
	s_barrier_signal -1
	s_barrier_wait -1
	v_mul_u32_u24_e32 v47, 0x64, v65
	v_lshlrev_b32_e32 v65, 2, v49
	global_inv scope:SCOPE_SE
	v_add3_u32 v49, 0, v47, v46
	v_mul_f32_e32 v46, v11, v53
	v_mul_f32_e32 v53, v15, v67
	;; [unrolled: 1-line block ×3, first 2 shown]
	v_lshlrev_b32_e32 v41, 2, v70
	s_delay_alu instid0(VALU_DEP_4) | instskip(NEXT) | instid1(VALU_DEP_4)
	v_fma_f32 v73, v3, v52, -v46
	v_fma_f32 v74, v21, v66, -v53
	s_delay_alu instid0(VALU_DEP_4) | instskip(SKIP_3) | instid1(VALU_DEP_3)
	v_fma_f32 v75, v5, v68, -v67
	v_dual_fmac_f32 v77, v11, v52 :: v_dual_mul_f32 v70, v24, v81
	v_mul_f32_e32 v3, v12, v83
	v_mul_f32_e32 v5, v8, v87
	v_fma_f32 v70, v26, v80, -v70
	v_mul_f32_e32 v7, v10, v89
	v_dual_mul_f32 v52, v4, v93 :: v_dual_lshlrev_b32 v43, 2, v43
	s_delay_alu instid0(VALU_DEP_2) | instskip(NEXT) | instid1(VALU_DEP_2)
	v_fma_f32 v53, v2, v88, -v7
	v_fmac_f32_e32 v52, v6, v92
	s_delay_alu instid0(VALU_DEP_3) | instskip(SKIP_3) | instid1(VALU_DEP_3)
	v_add3_u32 v48, 0, v48, v43
	v_mul_f32_e32 v43, v23, v51
	v_dual_mul_f32 v23, v2, v89 :: v_dual_mul_f32 v46, v64, v99
	v_add3_u32 v47, 0, v71, v65
	v_fma_f32 v72, v25, v50, -v43
	s_delay_alu instid0(VALU_DEP_1) | instskip(SKIP_2) | instid1(VALU_DEP_2)
	v_dual_mul_f32 v25, v22, v85 :: v_dual_sub_f32 v2, v72, v75
	v_mul_f32_e32 v51, v19, v83
	v_sub_f32_e32 v7, v77, v76
	v_dual_fmac_f32 v51, v12, v82 :: v_dual_mul_f32 v12, v42, v99
	v_mul_f32_e32 v65, v26, v81
	v_dual_mul_f32 v26, v6, v93 :: v_dual_mul_f32 v69, v17, v87
	s_delay_alu instid0(VALU_DEP_3) | instskip(NEXT) | instid1(VALU_DEP_3)
	v_fmac_f32_e32 v12, v64, v98
	v_fmac_f32_e32 v65, v24, v80
	s_delay_alu instid0(VALU_DEP_3) | instskip(SKIP_4) | instid1(VALU_DEP_4)
	v_fma_f32 v66, v4, v92, -v26
	v_mul_f32_e32 v15, v1, v101
	v_fmac_f32_e32 v69, v8, v86
	v_sub_f32_e32 v4, v76, v77
	v_dual_sub_f32 v26, v65, v51 :: v_dual_mul_f32 v11, v16, v85
	v_dual_sub_f32 v8, v78, v79 :: v_dual_fmac_f32 v15, v0, v100
	v_add_f32_e32 v6, v76, v79
	v_mul_f32_e32 v24, v13, v91
	s_delay_alu instid0(VALU_DEP_4) | instskip(SKIP_1) | instid1(VALU_DEP_1)
	v_fma_f32 v80, v22, v84, -v11
	v_mul_f32_e32 v22, v38, v103
	v_dual_fmac_f32 v22, v59, v102 :: v_dual_mul_f32 v11, v0, v101
	v_add_f32_e32 v0, v63, v76
	v_fmac_f32_e32 v25, v16, v84
	v_mul_f32_e32 v21, v20, v91
	v_fma_f32 v71, v19, v82, -v3
	s_delay_alu instid0(VALU_DEP_4) | instskip(SKIP_1) | instid1(VALU_DEP_4)
	v_dual_fmac_f32 v23, v10, v88 :: v_dual_add_f32 v0, v0, v77
	v_fma_f32 v20, v20, v90, -v24
	v_fmac_f32_e32 v21, v13, v90
	v_mul_f32_e32 v19, v39, v97
	v_sub_f32_e32 v24, v71, v80
	v_fma_f32 v81, v17, v86, -v5
	v_fma_f32 v17, v42, v98, -v46
	v_sub_f32_e32 v84, v21, v23
	v_fmac_f32_e32 v19, v61, v96
	v_dual_mul_f32 v43, v61, v97 :: v_dual_add_f32 v46, v60, v23
	v_add_f32_e32 v0, v0, v78
	s_delay_alu instid0(VALU_DEP_3) | instskip(NEXT) | instid1(VALU_DEP_3)
	v_add_f32_e32 v86, v58, v19
	v_fma_f32 v16, v39, v96, -v43
	v_mul_f32_e32 v5, v59, v103
	v_add_f32_e32 v92, v19, v22
	v_add_f32_e32 v0, v0, v79
	s_delay_alu instid0(VALU_DEP_3) | instskip(NEXT) | instid1(VALU_DEP_1)
	v_fma_f32 v13, v38, v102, -v5
	v_dual_sub_f32 v5, v79, v78 :: v_dual_sub_f32 v88, v16, v13
	s_delay_alu instid0(VALU_DEP_1)
	v_add_f32_e32 v4, v4, v5
	v_add_f32_e32 v50, v21, v52
	v_dual_sub_f32 v64, v23, v21 :: v_dual_mul_f32 v67, v18, v95
	v_sub_f32_e32 v42, v51, v65
	v_add_f32_e32 v10, v51, v25
	v_add_f32_e32 v5, v7, v8
	s_delay_alu instid0(VALU_DEP_4)
	v_fmac_f32_e32 v67, v9, v94
	v_mul_f32_e32 v3, v9, v95
	v_add_f32_e32 v9, v62, v65
	v_fma_f32 v7, -0.5, v10, v62
	v_add_f32_e32 v10, v46, v21
	v_sub_f32_e32 v82, v67, v52
	v_fma_f32 v68, v18, v94, -v3
	v_sub_f32_e32 v94, v15, v22
	v_fma_f32 v18, v1, v100, -v11
	v_dual_add_f32 v1, v77, v78 :: v_dual_add_f32 v10, v10, v52
	s_delay_alu instid0(VALU_DEP_1) | instskip(SKIP_4) | instid1(VALU_DEP_4)
	v_fma_f32 v1, -0.5, v1, v63
	v_dual_fmac_f32 v63, -0.5, v6 :: v_dual_add_f32 v6, v9, v51
	v_sub_f32_e32 v43, v25, v69
	v_sub_f32_e32 v38, v69, v25
	v_add_f32_e32 v39, v65, v69
	v_dual_sub_f32 v59, v53, v68 :: v_dual_add_f32 v6, v6, v25
	s_delay_alu instid0(VALU_DEP_4)
	v_add_f32_e32 v9, v42, v43
	v_fma_f32 v42, -0.5, v50, v60
	v_dual_add_f32 v87, v12, v15 :: v_dual_add_f32 v8, v26, v38
	v_fmac_f32_e32 v62, -0.5, v39
	v_add_f32_e32 v83, v23, v67
	v_dual_sub_f32 v85, v52, v67 :: v_dual_add_f32 v38, v86, v12
	v_fmamk_f32 v86, v59, 0xbf737871, v42
	v_fma_f32 v26, -0.5, v87, v58
	v_sub_f32_e32 v93, v12, v19
	v_sub_f32_e32 v11, v70, v81
	v_dual_sub_f32 v3, v73, v74 :: v_dual_add_f32 v46, v84, v85
	v_dual_sub_f32 v89, v17, v18 :: v_dual_fmac_f32 v42, 0x3f737871, v59
	v_dual_sub_f32 v90, v19, v12 :: v_dual_add_f32 v43, v64, v82
	v_fmac_f32_e32 v58, -0.5, v92
	v_add_f32_e32 v64, v93, v94
	v_dual_sub_f32 v61, v20, v66 :: v_dual_fmamk_f32 v84, v11, 0xbf737871, v7
	v_fmamk_f32 v85, v24, 0x3f737871, v62
	v_fmac_f32_e32 v62, 0xbf737871, v24
	v_fmac_f32_e32 v60, -0.5, v83
	v_sub_f32_e32 v91, v22, v15
	v_fmamk_f32 v82, v2, 0xbf737871, v1
	v_fmac_f32_e32 v1, 0x3f737871, v2
	v_fmac_f32_e32 v7, 0x3f737871, v11
	v_fmamk_f32 v87, v61, 0x3f737871, v60
	v_fmac_f32_e32 v60, 0xbf737871, v61
	v_add_f32_e32 v50, v90, v91
	v_add_f32_e32 v90, v38, v15
	v_fmamk_f32 v38, v88, 0xbf737871, v26
	v_fmac_f32_e32 v26, 0x3f737871, v88
	v_fmamk_f32 v39, v89, 0x3f737871, v58
	v_fmac_f32_e32 v58, 0xbf737871, v89
	;; [unrolled: 2-line block ×3, first 2 shown]
	v_fmac_f32_e32 v82, 0xbf167918, v3
	v_dual_fmac_f32 v1, 0x3f167918, v3 :: v_dual_fmac_f32 v42, 0x3f167918, v61
	v_dual_fmac_f32 v7, 0x3f167918, v24 :: v_dual_fmac_f32 v60, 0x3f167918, v59
	v_dual_add_f32 v3, v10, v67 :: v_dual_fmac_f32 v38, 0xbf167918, v89
	v_fmac_f32_e32 v87, 0xbf167918, v59
	v_fmac_f32_e32 v26, 0x3f167918, v89
	;; [unrolled: 1-line block ×4, first 2 shown]
	v_dual_fmac_f32 v83, 0xbf167918, v2 :: v_dual_fmac_f32 v84, 0xbf167918, v24
	v_add_f32_e32 v24, v90, v22
	v_dual_fmac_f32 v63, 0x3f167918, v2 :: v_dual_fmac_f32 v62, 0x3f167918, v11
	v_dual_fmac_f32 v85, 0xbf167918, v11 :: v_dual_fmac_f32 v86, 0xbf167918, v61
	s_delay_alu instid0(VALU_DEP_4)
	v_dual_fmac_f32 v82, 0x3e9e377a, v4 :: v_dual_fmac_f32 v83, 0x3e9e377a, v5
	v_dual_fmac_f32 v87, 0x3e9e377a, v46 :: v_dual_fmac_f32 v58, 0x3e9e377a, v64
	;; [unrolled: 1-line block ×3, first 2 shown]
	v_fmac_f32_e32 v38, 0x3e9e377a, v50
	v_dual_fmac_f32 v26, 0x3e9e377a, v50 :: v_dual_fmac_f32 v63, 0x3e9e377a, v5
	v_fmac_f32_e32 v84, 0x3e9e377a, v8
	v_dual_fmac_f32 v1, 0x3e9e377a, v4 :: v_dual_fmac_f32 v62, 0x3e9e377a, v9
	v_add_f32_e32 v2, v6, v69
	v_dual_fmac_f32 v85, 0x3e9e377a, v9 :: v_dual_fmac_f32 v42, 0x3e9e377a, v43
	v_dual_fmac_f32 v7, 0x3e9e377a, v8 :: v_dual_fmac_f32 v86, 0x3e9e377a, v43
	ds_store_2addr_b32 v49, v0, v82 offset1:5
	ds_store_2addr_b32 v49, v83, v63 offset0:10 offset1:15
	ds_store_b32 v49, v1 offset:80
	ds_store_2addr_b32 v48, v2, v84 offset1:5
	ds_store_2addr_b32 v48, v85, v62 offset0:10 offset1:15
	ds_store_b32 v48, v7 offset:80
	;; [unrolled: 3-line block ×3, first 2 shown]
	s_and_saveexec_b32 s1, s0
	s_cbranch_execz .LBB0_25
; %bb.24:
	v_and_b32_e32 v0, 0xffff, v40
	s_delay_alu instid0(VALU_DEP_1) | instskip(NEXT) | instid1(VALU_DEP_1)
	v_lshlrev_b32_e32 v0, 2, v0
	v_add3_u32 v0, 0, v41, v0
	ds_store_2addr_b32 v0, v24, v38 offset1:5
	ds_store_2addr_b32 v0, v39, v58 offset0:10 offset1:15
	ds_store_b32 v0, v26 offset:80
.LBB0_25:
	s_wait_alu 0xfffe
	s_or_b32 exec_lo, exec_lo, s1
	v_add_nc_u32_e32 v0, 0x600, v57
	global_wb scope:SCOPE_SE
	s_wait_dscnt 0x0
	s_barrier_signal -1
	s_barrier_wait -1
	global_inv scope:SCOPE_SE
	ds_load_2addr_b32 v[8:9], v0 offset0:16 offset1:141
	v_add_nc_u32_e32 v0, 0xa00, v57
	v_add_nc_u32_e32 v1, 0x1200, v57
	;; [unrolled: 1-line block ×5, first 2 shown]
	ds_load_2addr_b32 v[4:5], v0 offset0:10 offset1:160
	ds_load_2addr_b32 v[10:11], v1 offset0:48 offset1:173
	ds_load_2addr_b32 v[0:1], v2 offset0:42 offset1:192
	ds_load_2addr_b32 v[6:7], v3 offset0:29 offset1:154
	ds_load_2addr_b32 v[2:3], v42 offset0:61 offset1:186
	ds_load_b32 v50, v57
	ds_load_b32 v43, v44
	;; [unrolled: 1-line block ×3, first 2 shown]
	v_lshl_add_u32 v46, v27, 2, 0
	s_and_saveexec_b32 s1, s0
	s_cbranch_execz .LBB0_27
; %bb.26:
	ds_load_b32 v38, v57 offset:3100
	ds_load_b32 v39, v57 offset:4700
	;; [unrolled: 1-line block ×5, first 2 shown]
.LBB0_27:
	s_wait_alu 0xfffe
	s_or_b32 exec_lo, exec_lo, s1
	v_add_f32_e32 v59, v73, v74
	v_dual_add_f32 v60, v37, v72 :: v_dual_sub_f32 v61, v76, v79
	v_add_f32_e32 v76, v72, v75
	v_dual_sub_f32 v62, v77, v78 :: v_dual_sub_f32 v63, v72, v73
	s_delay_alu instid0(VALU_DEP_4) | instskip(NEXT) | instid1(VALU_DEP_4)
	v_fma_f32 v64, -0.5, v59, v37
	v_dual_sub_f32 v59, v75, v74 :: v_dual_add_f32 v60, v60, v73
	v_sub_f32_e32 v72, v73, v72
	v_fmac_f32_e32 v37, -0.5, v76
	s_delay_alu instid0(VALU_DEP_4) | instskip(NEXT) | instid1(VALU_DEP_4)
	v_fmamk_f32 v73, v61, 0x3f737871, v64
	v_dual_add_f32 v59, v63, v59 :: v_dual_add_f32 v60, v60, v74
	v_dual_fmac_f32 v64, 0xbf737871, v61 :: v_dual_sub_f32 v63, v74, v75
	s_delay_alu instid0(VALU_DEP_3) | instskip(NEXT) | instid1(VALU_DEP_3)
	v_dual_fmac_f32 v73, 0x3f167918, v62 :: v_dual_add_f32 v76, v71, v80
	v_dual_fmamk_f32 v74, v62, 0xbf737871, v37 :: v_dual_add_f32 v75, v60, v75
	s_delay_alu instid0(VALU_DEP_2) | instskip(NEXT) | instid1(VALU_DEP_4)
	v_dual_add_f32 v60, v36, v70 :: v_dual_fmac_f32 v73, 0x3e9e377a, v59
	v_fmac_f32_e32 v64, 0xbf167918, v62
	s_delay_alu instid0(VALU_DEP_3) | instskip(NEXT) | instid1(VALU_DEP_3)
	v_dual_fmac_f32 v74, 0x3f167918, v61 :: v_dual_add_f32 v63, v72, v63
	v_dual_fmac_f32 v37, 0x3f737871, v62 :: v_dual_add_f32 v60, v60, v71
	v_fma_f32 v62, -0.5, v76, v36
	s_delay_alu instid0(VALU_DEP_4) | instskip(NEXT) | instid1(VALU_DEP_3)
	v_dual_sub_f32 v65, v65, v69 :: v_dual_fmac_f32 v64, 0x3e9e377a, v59
	v_dual_fmac_f32 v74, 0x3e9e377a, v63 :: v_dual_add_f32 v59, v60, v80
	v_add_f32_e32 v60, v70, v81
	v_fmac_f32_e32 v37, 0xbf167918, v61
	s_delay_alu instid0(VALU_DEP_4)
	v_fmamk_f32 v69, v65, 0x3f737871, v62
	v_sub_f32_e32 v25, v51, v25
	v_dual_sub_f32 v51, v70, v71 :: v_dual_fmac_f32 v62, 0xbf737871, v65
	v_sub_f32_e32 v61, v81, v80
	v_fmac_f32_e32 v36, -0.5, v60
	v_dual_sub_f32 v60, v80, v81 :: v_dual_fmac_f32 v37, 0x3e9e377a, v63
	s_delay_alu instid0(VALU_DEP_4) | instskip(NEXT) | instid1(VALU_DEP_4)
	v_fmac_f32_e32 v62, 0xbf167918, v25
	v_add_f32_e32 v51, v51, v61
	v_add_f32_e32 v61, v20, v66
	v_dual_sub_f32 v19, v19, v22 :: v_dual_add_f32 v22, v16, v13
	global_wb scope:SCOPE_SE
	s_wait_dscnt 0x0
	v_dual_fmac_f32 v62, 0x3e9e377a, v51 :: v_dual_add_f32 v63, v59, v81
	v_dual_fmamk_f32 v72, v25, 0xbf737871, v36 :: v_dual_sub_f32 v59, v71, v70
	v_fmac_f32_e32 v36, 0x3f737871, v25
	v_fmac_f32_e32 v69, 0x3f167918, v25
	v_fma_f32 v70, -0.5, v61, v14
	s_delay_alu instid0(VALU_DEP_4) | instskip(NEXT) | instid1(VALU_DEP_4)
	v_dual_fmac_f32 v72, 0x3f167918, v65 :: v_dual_add_f32 v59, v59, v60
	v_dual_sub_f32 v23, v23, v67 :: v_dual_fmac_f32 v36, 0xbf167918, v65
	v_add_f32_e32 v25, v14, v53
	s_delay_alu instid0(VALU_DEP_3) | instskip(SKIP_1) | instid1(VALU_DEP_4)
	v_dual_add_f32 v61, v53, v68 :: v_dual_fmac_f32 v72, 0x3e9e377a, v59
	v_sub_f32_e32 v60, v68, v66
	v_dual_fmac_f32 v36, 0x3e9e377a, v59 :: v_dual_sub_f32 v21, v21, v52
	s_delay_alu instid0(VALU_DEP_3) | instskip(SKIP_3) | instid1(VALU_DEP_3)
	v_fmac_f32_e32 v14, -0.5, v61
	v_dual_sub_f32 v52, v53, v20 :: v_dual_fmac_f32 v69, 0x3e9e377a, v51
	v_fmamk_f32 v51, v23, 0x3f737871, v70
	v_dual_fmac_f32 v70, 0xbf737871, v23 :: v_dual_add_f32 v25, v25, v20
	v_add_f32_e32 v52, v52, v60
	v_sub_f32_e32 v20, v20, v53
	s_delay_alu instid0(VALU_DEP_4) | instskip(NEXT) | instid1(VALU_DEP_4)
	v_fmac_f32_e32 v51, 0x3f167918, v21
	v_dual_fmac_f32 v70, 0xbf167918, v21 :: v_dual_add_f32 v25, v25, v66
	v_dual_sub_f32 v53, v66, v68 :: v_dual_sub_f32 v12, v12, v15
	s_delay_alu instid0(VALU_DEP_3) | instskip(NEXT) | instid1(VALU_DEP_3)
	v_fmac_f32_e32 v51, 0x3e9e377a, v52
	v_fmac_f32_e32 v70, 0x3e9e377a, v52
	s_delay_alu instid0(VALU_DEP_4) | instskip(SKIP_4) | instid1(VALU_DEP_3)
	v_add_f32_e32 v65, v25, v68
	v_fmamk_f32 v52, v21, 0xbf737871, v14
	v_dual_fmac_f32 v14, 0x3f737871, v21 :: v_dual_add_f32 v21, v30, v16
	v_add_f32_e32 v25, v17, v18
	s_barrier_signal -1
	v_fmac_f32_e32 v52, 0x3f167918, v23
	s_delay_alu instid0(VALU_DEP_3) | instskip(NEXT) | instid1(VALU_DEP_3)
	v_dual_fmac_f32 v14, 0xbf167918, v23 :: v_dual_add_f32 v21, v21, v17
	v_fma_f32 v59, -0.5, v25, v30
	v_fmac_f32_e32 v30, -0.5, v22
	s_barrier_wait -1
	global_inv scope:SCOPE_SE
	v_dual_add_f32 v15, v21, v18 :: v_dual_fmamk_f32 v60, v19, 0x3f737871, v59
	v_dual_fmac_f32 v59, 0xbf737871, v19 :: v_dual_add_f32 v20, v20, v53
	v_sub_f32_e32 v21, v13, v18
	v_fmamk_f32 v61, v12, 0xbf737871, v30
	s_delay_alu instid0(VALU_DEP_4)
	v_fmac_f32_e32 v60, 0x3f167918, v12
	v_dual_fmac_f32 v30, 0x3f737871, v12 :: v_dual_add_f32 v25, v15, v13
	v_fmac_f32_e32 v52, 0x3e9e377a, v20
	v_fmac_f32_e32 v14, 0x3e9e377a, v20
	v_dual_sub_f32 v20, v16, v17 :: v_dual_fmac_f32 v59, 0xbf167918, v12
	v_dual_sub_f32 v16, v17, v16 :: v_dual_sub_f32 v17, v18, v13
	s_delay_alu instid0(VALU_DEP_2)
	v_dual_fmac_f32 v61, 0x3f167918, v19 :: v_dual_add_f32 v18, v20, v21
	v_fmac_f32_e32 v30, 0xbf167918, v19
	ds_store_2addr_b32 v49, v75, v73 offset1:5
	ds_store_2addr_b32 v49, v74, v37 offset0:10 offset1:15
	ds_store_b32 v49, v64 offset:80
	ds_store_2addr_b32 v48, v63, v69 offset1:5
	ds_store_2addr_b32 v48, v72, v36 offset0:10 offset1:15
	ds_store_b32 v48, v62 offset:80
	;; [unrolled: 3-line block ×3, first 2 shown]
	v_dual_add_f32 v12, v16, v17 :: v_dual_fmac_f32 v59, 0x3e9e377a, v18
	s_delay_alu instid0(VALU_DEP_1)
	v_dual_fmac_f32 v60, 0x3e9e377a, v18 :: v_dual_fmac_f32 v61, 0x3e9e377a, v12
	v_fmac_f32_e32 v30, 0x3e9e377a, v12
	s_and_saveexec_b32 s1, s0
	s_cbranch_execz .LBB0_29
; %bb.28:
	v_and_b32_e32 v12, 0xffff, v40
	s_delay_alu instid0(VALU_DEP_1) | instskip(NEXT) | instid1(VALU_DEP_1)
	v_lshlrev_b32_e32 v12, 2, v12
	v_add3_u32 v12, 0, v41, v12
	ds_store_2addr_b32 v12, v25, v60 offset1:5
	ds_store_2addr_b32 v12, v61, v30 offset0:10 offset1:15
	ds_store_b32 v12, v59 offset:80
.LBB0_29:
	s_wait_alu 0xfffe
	s_or_b32 exec_lo, exec_lo, s1
	v_add_nc_u32_e32 v12, 0x600, v57
	global_wb scope:SCOPE_SE
	s_wait_dscnt 0x0
	s_barrier_signal -1
	s_barrier_wait -1
	global_inv scope:SCOPE_SE
	ds_load_2addr_b32 v[20:21], v12 offset0:16 offset1:141
	v_add_nc_u32_e32 v12, 0xa00, v57
	v_add_nc_u32_e32 v13, 0x1200, v57
	;; [unrolled: 1-line block ×5, first 2 shown]
	ds_load_2addr_b32 v[16:17], v12 offset0:10 offset1:160
	ds_load_2addr_b32 v[22:23], v13 offset0:48 offset1:173
	;; [unrolled: 1-line block ×5, first 2 shown]
	ds_load_b32 v53, v57
	ds_load_b32 v52, v44
	;; [unrolled: 1-line block ×3, first 2 shown]
	s_and_saveexec_b32 s1, s0
	s_cbranch_execz .LBB0_31
; %bb.30:
	ds_load_b32 v60, v57 offset:3100
	ds_load_b32 v61, v57 offset:4700
	;; [unrolled: 1-line block ×5, first 2 shown]
.LBB0_31:
	s_wait_alu 0xfffe
	s_or_b32 exec_lo, exec_lo, s1
	v_mul_lo_u16 v35, v35, 41
	v_mul_lo_u16 v32, v32, 41
	v_mul_u32_u24_e32 v33, 0x47af, v33
	v_mul_u32_u24_e32 v34, 0x47af, v34
	s_delay_alu instid0(VALU_DEP_4) | instskip(NEXT) | instid1(VALU_DEP_4)
	v_lshrrev_b16 v35, 10, v35
	v_lshrrev_b16 v32, 10, v32
	s_delay_alu instid0(VALU_DEP_4) | instskip(NEXT) | instid1(VALU_DEP_4)
	v_lshrrev_b32_e32 v33, 16, v33
	v_lshrrev_b32_e32 v34, 16, v34
	s_delay_alu instid0(VALU_DEP_4) | instskip(NEXT) | instid1(VALU_DEP_4)
	v_mul_lo_u16 v36, v35, 25
	v_mul_lo_u16 v37, v32, 25
	s_delay_alu instid0(VALU_DEP_2) | instskip(NEXT) | instid1(VALU_DEP_2)
	v_sub_nc_u16 v36, v27, v36
	v_sub_nc_u16 v37, v56, v37
	s_delay_alu instid0(VALU_DEP_2) | instskip(NEXT) | instid1(VALU_DEP_2)
	v_and_b32_e32 v36, 0xff, v36
	v_and_b32_e32 v37, 0xff, v37
	s_delay_alu instid0(VALU_DEP_2) | instskip(NEXT) | instid1(VALU_DEP_2)
	v_lshlrev_b32_e32 v40, 5, v36
	v_lshlrev_b32_e32 v41, 5, v37
	s_clause 0x2
	global_load_b128 v[64:67], v40, s[4:5] offset:160
	global_load_b128 v[68:71], v40, s[4:5] offset:176
	global_load_b128 v[72:75], v41, s[4:5] offset:160
	v_sub_nc_u16 v40, v55, v33
	global_load_b128 v[76:79], v41, s[4:5] offset:176
	v_sub_nc_u16 v41, v31, v34
	v_and_b32_e32 v32, 0xffff, v32
	v_lshrrev_b16 v40, 1, v40
	s_delay_alu instid0(VALU_DEP_2) | instskip(NEXT) | instid1(VALU_DEP_2)
	v_mul_u32_u24_e32 v32, 0x1f4, v32
	v_add_nc_u16 v33, v40, v33
	v_lshrrev_b16 v40, 1, v41
	s_delay_alu instid0(VALU_DEP_2) | instskip(NEXT) | instid1(VALU_DEP_2)
	v_lshrrev_b16 v33, 4, v33
	v_add_nc_u16 v34, v40, v34
	s_delay_alu instid0(VALU_DEP_2) | instskip(NEXT) | instid1(VALU_DEP_2)
	v_mul_lo_u16 v40, v33, 25
	v_lshrrev_b16 v34, 4, v34
	v_and_b32_e32 v33, 0xffff, v33
	s_delay_alu instid0(VALU_DEP_3) | instskip(NEXT) | instid1(VALU_DEP_3)
	v_sub_nc_u16 v40, v55, v40
	v_mul_lo_u16 v34, v34, 25
	s_delay_alu instid0(VALU_DEP_2) | instskip(NEXT) | instid1(VALU_DEP_2)
	v_and_b32_e32 v40, 0xffff, v40
	v_sub_nc_u16 v31, v31, v34
	s_delay_alu instid0(VALU_DEP_2) | instskip(NEXT) | instid1(VALU_DEP_2)
	v_lshlrev_b32_e32 v34, 5, v40
	v_and_b32_e32 v31, 0xffff, v31
	s_delay_alu instid0(VALU_DEP_1)
	v_lshlrev_b32_e32 v41, 5, v31
	s_wait_loadcnt_dscnt 0x206
	v_mul_f32_e32 v47, v22, v69
	s_clause 0x3
	global_load_b128 v[80:83], v34, s[4:5] offset:160
	global_load_b128 v[84:87], v34, s[4:5] offset:176
	;; [unrolled: 1-line block ×4, first 2 shown]
	v_dual_mul_f32 v49, v10, v69 :: v_dual_and_b32 v34, 0xffff, v35
	s_wait_dscnt 0x5
	v_dual_mul_f32 v48, v13, v71 :: v_dual_lshlrev_b32 v35, 2, v36
	v_lshlrev_b32_e32 v36, 2, v37
	s_delay_alu instid0(VALU_DEP_3) | instskip(SKIP_1) | instid1(VALU_DEP_4)
	v_mul_u32_u24_e32 v34, 0x1f4, v34
	v_mul_f32_e32 v37, v5, v67
	v_fmac_f32_e32 v48, v1, v70
	v_mul_f32_e32 v41, v17, v67
	v_add3_u32 v56, 0, v32, v36
	v_add3_u32 v62, 0, v34, v35
	v_mul_u32_u24_e32 v32, 0x1f4, v33
	s_wait_loadcnt_dscnt 0x403
	v_dual_mul_f32 v34, v14, v79 :: v_dual_lshlrev_b32 v33, 2, v40
	v_mul_f32_e32 v40, v20, v65
	v_lshl_add_u32 v55, v31, 2, 0
	v_mul_f32_e32 v31, v18, v75
	s_delay_alu instid0(VALU_DEP_4)
	v_fmac_f32_e32 v34, v2, v78
	v_add3_u32 v63, 0, v32, v33
	v_mul_f32_e32 v32, v23, v77
	v_dual_mul_f32 v33, v21, v73 :: v_dual_fmac_f32 v40, v8, v64
	v_mul_f32_e32 v69, v6, v75
	v_mul_f32_e32 v35, v8, v65
	s_delay_alu instid0(VALU_DEP_4) | instskip(NEXT) | instid1(VALU_DEP_4)
	v_dual_mul_f32 v65, v1, v71 :: v_dual_fmac_f32 v32, v11, v76
	v_add_f32_e32 v8, v40, v48
	s_delay_alu instid0(VALU_DEP_4)
	v_fma_f32 v18, v18, v74, -v69
	v_fmac_f32_e32 v41, v5, v66
	v_add_f32_e32 v1, v50, v40
	v_fmac_f32_e32 v31, v6, v74
	v_fmac_f32_e32 v33, v9, v72
	;; [unrolled: 1-line block ×3, first 2 shown]
	v_fma_f32 v22, v22, v68, -v49
	v_fma_f32 v36, v20, v64, -v35
	;; [unrolled: 1-line block ×3, first 2 shown]
	v_sub_f32_e32 v68, v31, v33
	v_mul_f32_e32 v71, v11, v77
	v_dual_mul_f32 v67, v9, v73 :: v_dual_sub_f32 v6, v48, v47
	v_dual_mul_f32 v73, v2, v79 :: v_dual_sub_f32 v10, v47, v48
	v_add_f32_e32 v2, v41, v47
	s_delay_alu instid0(VALU_DEP_4) | instskip(SKIP_3) | instid1(VALU_DEP_4)
	v_fma_f32 v20, v23, v76, -v71
	v_fma_f32 v35, v13, v70, -v65
	;; [unrolled: 1-line block ×4, first 2 shown]
	v_dual_sub_f32 v23, v37, v22 :: v_dual_sub_f32 v64, v18, v20
	v_sub_f32_e32 v5, v40, v41
	v_dual_sub_f32 v21, v36, v35 :: v_dual_sub_f32 v66, v34, v32
	v_sub_f32_e32 v69, v32, v34
	v_fma_f32 v71, -0.5, v2, v50
	s_delay_alu instid0(VALU_DEP_4) | instskip(SKIP_3) | instid1(VALU_DEP_3)
	v_add_f32_e32 v72, v5, v6
	v_add_f32_e32 v70, v1, v41
	v_dual_add_f32 v11, v43, v33 :: v_dual_fmac_f32 v50, -0.5, v8
	v_add_f32_e32 v13, v31, v32
	v_dual_sub_f32 v49, v17, v14 :: v_dual_add_f32 v70, v70, v47
	s_delay_alu instid0(VALU_DEP_3)
	v_add_f32_e32 v2, v11, v31
	v_sub_f32_e32 v65, v33, v31
	v_add_f32_e32 v67, v33, v34
	global_wb scope:SCOPE_SE
	s_wait_loadcnt_dscnt 0x0
	s_barrier_signal -1
	s_barrier_wait -1
	global_inv scope:SCOPE_SE
	v_mul_f32_e32 v76, v38, v89
	v_mul_f32_e32 v78, v58, v93
	v_dual_mul_f32 v8, v59, v95 :: v_dual_sub_f32 v9, v41, v40
	v_dual_mul_f32 v6, v30, v93 :: v_dual_add_f32 v65, v65, v66
	v_add_f32_e32 v66, v68, v69
	s_delay_alu instid0(VALU_DEP_3) | instskip(NEXT) | instid1(VALU_DEP_4)
	v_dual_mul_f32 v68, v7, v83 :: v_dual_add_f32 v73, v9, v10
	v_dual_mul_f32 v9, v19, v83 :: v_dual_fmac_f32 v8, v26, v94
	v_fmamk_f32 v83, v23, 0x3f737871, v50
	v_fmac_f32_e32 v50, 0xbf737871, v23
	v_mul_f32_e32 v10, v16, v81
	v_fma_f32 v74, -0.5, v13, v43
	v_fmac_f32_e32 v43, -0.5, v67
	v_dual_mul_f32 v67, v4, v81 :: v_dual_fmac_f32 v6, v58, v92
	v_dual_mul_f32 v13, v15, v87 :: v_dual_fmac_f32 v50, 0x3f167918, v21
	v_mul_f32_e32 v75, v3, v87
	v_fmamk_f32 v87, v49, 0xbf737871, v74
	v_fmac_f32_e32 v74, 0x3f737871, v49
	v_mul_f32_e32 v11, v12, v85
	v_fma_f32 v16, v16, v80, -v67
	v_dual_fmac_f32 v9, v7, v82 :: v_dual_fmac_f32 v50, 0x3e9e377a, v73
	v_fma_f32 v7, v15, v86, -v75
	v_dual_fmac_f32 v10, v4, v80 :: v_dual_fmac_f32 v13, v3, v86
	v_fmamk_f32 v81, v21, 0xbf737871, v71
	v_fma_f32 v4, v30, v92, -v78
	s_delay_alu instid0(VALU_DEP_4)
	v_sub_f32_e32 v30, v16, v7
	v_fmac_f32_e32 v74, 0x3f167918, v64
	v_fmac_f32_e32 v11, v0, v84
	v_mul_f32_e32 v69, v0, v85
	v_dual_mul_f32 v77, v39, v91 :: v_dual_add_f32 v58, v10, v13
	v_fmac_f32_e32 v71, 0x3f737871, v21
	v_mul_f32_e32 v79, v26, v95
	v_fma_f32 v19, v19, v82, -v68
	v_add_f32_e32 v26, v9, v11
	v_fma_f32 v12, v12, v84, -v69
	v_mul_f32_e32 v1, v60, v89
	v_fmac_f32_e32 v81, 0xbf167918, v23
	v_fmac_f32_e32 v83, 0xbf167918, v21
	v_fmac_f32_e32 v71, 0x3f167918, v23
	v_fmac_f32_e32 v87, 0xbf167918, v64
	v_fmac_f32_e32 v1, v38, v88
	v_dual_add_f32 v23, v42, v10 :: v_dual_sub_f32 v38, v19, v12
	v_fma_f32 v26, -0.5, v26, v42
	v_dual_fmac_f32 v42, -0.5, v58 :: v_dual_add_f32 v85, v2, v32
	v_add_f32_e32 v15, v70, v48
	v_fmac_f32_e32 v81, 0x3e9e377a, v72
	v_fmac_f32_e32 v83, 0x3e9e377a, v73
	;; [unrolled: 1-line block ×3, first 2 shown]
	v_add_f32_e32 v21, v85, v34
	v_fmac_f32_e32 v87, 0x3e9e377a, v65
	v_dual_mul_f32 v5, v61, v91 :: v_dual_fmac_f32 v74, 0x3e9e377a, v65
	v_fmamk_f32 v89, v64, 0x3f737871, v43
	v_fmac_f32_e32 v43, 0xbf737871, v64
	ds_store_2addr_b32 v62, v15, v81 offset1:25
	ds_store_2addr_b32 v62, v83, v50 offset0:50 offset1:75
	ds_store_b32 v62, v71 offset:400
	ds_store_2addr_b32 v56, v21, v87 offset1:25
	v_fmamk_f32 v21, v38, 0x3f737871, v42
	v_fmac_f32_e32 v42, 0xbf737871, v38
	v_fmac_f32_e32 v5, v39, v90
	;; [unrolled: 1-line block ×3, first 2 shown]
	v_sub_f32_e32 v39, v10, v9
	v_fmamk_f32 v15, v30, 0xbf737871, v26
	v_fmac_f32_e32 v26, 0x3f737871, v30
	v_fmac_f32_e32 v89, 0xbf167918, v49
	v_dual_fmac_f32 v42, 0x3f167918, v30 :: v_dual_sub_f32 v49, v13, v11
	v_fma_f32 v2, v60, v88, -v76
	s_delay_alu instid0(VALU_DEP_4)
	v_fmac_f32_e32 v26, 0x3f167918, v38
	v_fmac_f32_e32 v15, 0xbf167918, v38
	;; [unrolled: 1-line block ×3, first 2 shown]
	v_add_f32_e32 v39, v39, v49
	v_fma_f32 v3, v61, v90, -v77
	v_fmac_f32_e32 v89, 0x3e9e377a, v66
	s_delay_alu instid0(VALU_DEP_3) | instskip(SKIP_4) | instid1(VALU_DEP_2)
	v_dual_fmac_f32 v43, 0x3e9e377a, v66 :: v_dual_fmac_f32 v26, 0x3e9e377a, v39
	v_sub_f32_e32 v60, v11, v13
	v_fma_f32 v0, v59, v94, -v79
	v_sub_f32_e32 v59, v9, v10
	v_fmac_f32_e32 v15, 0x3e9e377a, v39
	v_add_f32_e32 v49, v59, v60
	s_delay_alu instid0(VALU_DEP_1) | instskip(SKIP_2) | instid1(VALU_DEP_2)
	v_fmac_f32_e32 v42, 0x3e9e377a, v49
	v_add_f32_e32 v23, v23, v9
	v_fmac_f32_e32 v21, 0x3e9e377a, v49
	v_add_f32_e32 v23, v23, v11
	s_delay_alu instid0(VALU_DEP_1)
	v_add_f32_e32 v23, v23, v13
	ds_store_2addr_b32 v56, v89, v43 offset0:50 offset1:75
	ds_store_b32 v56, v74 offset:400
	ds_store_2addr_b32 v63, v23, v15 offset1:25
	ds_store_2addr_b32 v63, v21, v42 offset0:50 offset1:75
	ds_store_b32 v63, v26 offset:400
	s_and_saveexec_b32 s1, s0
	s_cbranch_execz .LBB0_33
; %bb.32:
	v_dual_add_f32 v15, v1, v8 :: v_dual_sub_f32 v42, v8, v6
	v_dual_sub_f32 v21, v5, v1 :: v_dual_sub_f32 v30, v3, v4
	v_dual_sub_f32 v23, v6, v8 :: v_dual_add_f32 v26, v5, v6
	s_delay_alu instid0(VALU_DEP_3) | instskip(SKIP_1) | instid1(VALU_DEP_3)
	v_fma_f32 v15, -0.5, v15, v24
	v_dual_sub_f32 v38, v2, v0 :: v_dual_add_f32 v39, v24, v1
	v_fma_f32 v24, -0.5, v26, v24
	s_delay_alu instid0(VALU_DEP_4) | instskip(NEXT) | instid1(VALU_DEP_4)
	v_add_f32_e32 v21, v21, v23
	v_dual_fmamk_f32 v23, v30, 0xbf737871, v15 :: v_dual_sub_f32 v26, v1, v5
	s_delay_alu instid0(VALU_DEP_4) | instskip(SKIP_1) | instid1(VALU_DEP_3)
	v_add_f32_e32 v39, v39, v5
	v_fmac_f32_e32 v15, 0x3f737871, v30
	v_fmac_f32_e32 v23, 0x3f167918, v38
	s_delay_alu instid0(VALU_DEP_4) | instskip(NEXT) | instid1(VALU_DEP_4)
	v_add_f32_e32 v26, v26, v42
	v_add_f32_e32 v39, v39, v6
	v_fmamk_f32 v43, v38, 0x3f737871, v24
	v_fmac_f32_e32 v24, 0xbf737871, v38
	v_fmac_f32_e32 v15, 0xbf167918, v38
	v_add_nc_u32_e32 v38, 0x1c00, v55
	s_delay_alu instid0(VALU_DEP_4) | instskip(NEXT) | instid1(VALU_DEP_4)
	v_fmac_f32_e32 v43, 0x3f167918, v30
	v_fmac_f32_e32 v24, 0xbf167918, v30
	v_dual_add_f32 v30, v39, v8 :: v_dual_fmac_f32 v23, 0x3e9e377a, v21
	v_fmac_f32_e32 v15, 0x3e9e377a, v21
	s_delay_alu instid0(VALU_DEP_4) | instskip(NEXT) | instid1(VALU_DEP_4)
	v_fmac_f32_e32 v43, 0x3e9e377a, v26
	v_fmac_f32_e32 v24, 0x3e9e377a, v26
	ds_store_2addr_b32 v38, v30, v24 offset0:83 offset1:108
	ds_store_2addr_b32 v38, v15, v23 offset0:133 offset1:158
	ds_store_b32 v55, v43 offset:7900
.LBB0_33:
	s_wait_alu 0xfffe
	s_or_b32 exec_lo, exec_lo, s1
	v_dual_add_f32 v15, v37, v22 :: v_dual_sub_f32 v26, v36, v37
	v_dual_add_f32 v21, v53, v36 :: v_dual_sub_f32 v30, v35, v22
	v_add_f32_e32 v38, v36, v35
	v_dual_sub_f32 v23, v40, v48 :: v_dual_sub_f32 v24, v41, v47
	s_delay_alu instid0(VALU_DEP_4) | instskip(NEXT) | instid1(VALU_DEP_4)
	v_fma_f32 v15, -0.5, v15, v53
	v_add_f32_e32 v21, v21, v37
	s_delay_alu instid0(VALU_DEP_4) | instskip(SKIP_1) | instid1(VALU_DEP_3)
	v_dual_sub_f32 v36, v37, v36 :: v_dual_fmac_f32 v53, -0.5, v38
	v_add_f32_e32 v26, v26, v30
	v_dual_fmamk_f32 v42, v23, 0x3f737871, v15 :: v_dual_add_f32 v21, v21, v22
	v_fmac_f32_e32 v15, 0xbf737871, v23
	s_delay_alu instid0(VALU_DEP_4) | instskip(SKIP_1) | instid1(VALU_DEP_4)
	v_dual_sub_f32 v22, v22, v35 :: v_dual_fmamk_f32 v43, v24, 0xbf737871, v53
	v_add_f32_e32 v30, v18, v20
	v_dual_fmac_f32 v42, 0x3f167918, v24 :: v_dual_add_f32 v21, v21, v35
	s_delay_alu instid0(VALU_DEP_3) | instskip(NEXT) | instid1(VALU_DEP_4)
	v_dual_fmac_f32 v15, 0xbf167918, v24 :: v_dual_add_f32 v22, v36, v22
	v_fmac_f32_e32 v43, 0x3f167918, v23
	v_dual_fmac_f32 v53, 0x3f737871, v24 :: v_dual_add_f32 v24, v52, v17
	v_fma_f32 v58, -0.5, v30, v52
	v_sub_f32_e32 v30, v33, v34
	v_dual_fmac_f32 v42, 0x3e9e377a, v26 :: v_dual_sub_f32 v31, v31, v32
	s_delay_alu instid0(VALU_DEP_4) | instskip(NEXT) | instid1(VALU_DEP_3)
	v_fmac_f32_e32 v53, 0xbf167918, v23
	v_dual_add_f32 v23, v24, v18 :: v_dual_fmamk_f32 v24, v30, 0x3f737871, v58
	v_fmac_f32_e32 v15, 0x3e9e377a, v26
	v_dual_add_f32 v26, v17, v14 :: v_dual_sub_f32 v33, v14, v20
	v_dual_sub_f32 v32, v17, v18 :: v_dual_sub_f32 v17, v18, v17
	v_sub_f32_e32 v10, v10, v13
	v_sub_f32_e32 v18, v20, v14
	v_fmac_f32_e32 v53, 0x3e9e377a, v22
	v_fmac_f32_e32 v52, -0.5, v26
	v_fmac_f32_e32 v24, 0x3f167918, v31
	v_sub_f32_e32 v9, v9, v11
	v_dual_add_f32 v17, v17, v18 :: v_dual_add_f32 v18, v51, v16
	v_dual_fmac_f32 v43, 0x3e9e377a, v22 :: v_dual_add_f32 v22, v23, v20
	v_dual_add_f32 v23, v32, v33 :: v_dual_fmamk_f32 v26, v31, 0xbf737871, v52
	v_add_f32_e32 v20, v19, v12
	s_delay_alu instid0(VALU_DEP_4)
	v_add_f32_e32 v18, v18, v19
	v_fmac_f32_e32 v58, 0xbf737871, v30
	v_add_f32_e32 v14, v22, v14
	v_add_f32_e32 v22, v16, v7
	v_fma_f32 v20, -0.5, v20, v51
	v_add_f32_e32 v13, v18, v12
	v_sub_f32_e32 v18, v7, v12
	v_fmac_f32_e32 v52, 0x3f737871, v31
	v_dual_fmac_f32 v58, 0xbf167918, v31 :: v_dual_fmac_f32 v51, -0.5, v22
	v_fmamk_f32 v11, v10, 0x3f737871, v20
	v_fmac_f32_e32 v26, 0x3f167918, v30
	s_delay_alu instid0(VALU_DEP_4)
	v_fmac_f32_e32 v52, 0xbf167918, v30
	v_fmac_f32_e32 v24, 0x3e9e377a, v23
	v_fmamk_f32 v22, v9, 0xbf737871, v51
	v_fmac_f32_e32 v11, 0x3f167918, v9
	v_fmac_f32_e32 v26, 0x3e9e377a, v17
	v_dual_fmac_f32 v52, 0x3e9e377a, v17 :: v_dual_sub_f32 v17, v16, v19
	v_dual_sub_f32 v16, v19, v16 :: v_dual_fmac_f32 v51, 0x3f737871, v9
	v_dual_sub_f32 v12, v12, v7 :: v_dual_add_nc_u32 v19, 0x1600, v57
	s_delay_alu instid0(VALU_DEP_3) | instskip(SKIP_1) | instid1(VALU_DEP_3)
	v_dual_add_f32 v17, v17, v18 :: v_dual_fmac_f32 v58, 0x3e9e377a, v23
	v_add_nc_u32_e32 v23, 0x1a00, v57
	v_dual_fmac_f32 v51, 0xbf167918, v10 :: v_dual_add_f32 v12, v16, v12
	s_delay_alu instid0(VALU_DEP_3)
	v_fmac_f32_e32 v11, 0x3e9e377a, v17
	global_wb scope:SCOPE_SE
	s_wait_dscnt 0x0
	s_barrier_signal -1
	s_barrier_wait -1
	v_fmac_f32_e32 v51, 0x3e9e377a, v12
	v_fmac_f32_e32 v20, 0xbf737871, v10
	global_inv scope:SCOPE_SE
	v_add_nc_u32_e32 v16, 0xe00, v57
	v_add_nc_u32_e32 v18, 0x1200, v57
	v_fmac_f32_e32 v22, 0x3f167918, v10
	v_fmac_f32_e32 v20, 0xbf167918, v9
	v_add_nc_u32_e32 v9, 0x600, v57
	ds_load_b32 v47, v57
	ds_load_b32 v48, v44
	;; [unrolled: 1-line block ×3, first 2 shown]
	ds_load_b32 v50, v46 offset:1500
	ds_load_2addr_b32 v[38:39], v9 offset0:116 offset1:241
	v_add_nc_u32_e32 v9, 0xa00, v57
	ds_load_2addr_b32 v[34:35], v9 offset0:110 offset1:235
	ds_load_2addr_b32 v[30:31], v16 offset0:104 offset1:229
	;; [unrolled: 1-line block ×5, first 2 shown]
	v_dual_add_f32 v7, v13, v7 :: v_dual_fmac_f32 v20, 0x3e9e377a, v17
	v_fmac_f32_e32 v22, 0x3e9e377a, v12
	global_wb scope:SCOPE_SE
	s_wait_dscnt 0x0
	s_barrier_signal -1
	s_barrier_wait -1
	global_inv scope:SCOPE_SE
	ds_store_2addr_b32 v62, v21, v42 offset1:25
	ds_store_2addr_b32 v62, v43, v53 offset0:50 offset1:75
	ds_store_b32 v62, v15 offset:400
	ds_store_2addr_b32 v56, v14, v24 offset1:25
	ds_store_2addr_b32 v56, v26, v52 offset0:50 offset1:75
	ds_store_b32 v56, v58 offset:400
	;; [unrolled: 3-line block ×3, first 2 shown]
	s_and_saveexec_b32 s1, s0
	s_cbranch_execz .LBB0_35
; %bb.34:
	v_add_f32_e32 v7, v3, v4
	v_add_f32_e32 v9, v25, v2
	v_sub_f32_e32 v1, v1, v8
	v_dual_sub_f32 v5, v5, v6 :: v_dual_sub_f32 v10, v0, v4
	v_add_f32_e32 v6, v2, v0
	v_sub_f32_e32 v8, v2, v3
	v_fma_f32 v7, -0.5, v7, v25
	v_sub_f32_e32 v2, v3, v2
	s_delay_alu instid0(VALU_DEP_4) | instskip(NEXT) | instid1(VALU_DEP_4)
	v_fmac_f32_e32 v25, -0.5, v6
	v_add_f32_e32 v8, v8, v10
	s_delay_alu instid0(VALU_DEP_4) | instskip(SKIP_1) | instid1(VALU_DEP_2)
	v_fmamk_f32 v6, v1, 0x3f737871, v7
	v_add_f32_e32 v9, v9, v3
	v_dual_sub_f32 v3, v4, v0 :: v_dual_fmac_f32 v6, 0x3f167918, v5
	s_delay_alu instid0(VALU_DEP_2) | instskip(SKIP_1) | instid1(VALU_DEP_3)
	v_add_f32_e32 v4, v9, v4
	v_fmamk_f32 v9, v5, 0xbf737871, v25
	v_dual_fmac_f32 v25, 0x3f737871, v5 :: v_dual_add_f32 v2, v2, v3
	s_delay_alu instid0(VALU_DEP_3) | instskip(NEXT) | instid1(VALU_DEP_3)
	v_dual_fmac_f32 v7, 0xbf737871, v1 :: v_dual_add_f32 v0, v4, v0
	v_fmac_f32_e32 v9, 0x3f167918, v1
	s_delay_alu instid0(VALU_DEP_3) | instskip(SKIP_1) | instid1(VALU_DEP_4)
	v_fmac_f32_e32 v25, 0xbf167918, v1
	v_fmac_f32_e32 v6, 0x3e9e377a, v8
	;; [unrolled: 1-line block ×3, first 2 shown]
	v_add_nc_u32_e32 v1, 0x1c00, v55
	v_fmac_f32_e32 v9, 0x3e9e377a, v2
	v_fmac_f32_e32 v25, 0x3e9e377a, v2
	s_delay_alu instid0(VALU_DEP_4)
	v_fmac_f32_e32 v7, 0x3e9e377a, v8
	ds_store_2addr_b32 v1, v0, v6 offset0:83 offset1:108
	ds_store_2addr_b32 v1, v9, v25 offset0:133 offset1:158
	ds_store_b32 v55, v7 offset:7900
.LBB0_35:
	s_wait_alu 0xfffe
	s_or_b32 exec_lo, exec_lo, s1
	global_wb scope:SCOPE_SE
	s_wait_dscnt 0x0
	s_barrier_signal -1
	s_barrier_wait -1
	global_inv scope:SCOPE_SE
	s_and_saveexec_b32 s0, vcc_lo
	s_cbranch_execz .LBB0_37
; %bb.36:
	v_add_nc_u32_e32 v97, 0x3e8, v54
	v_mul_u32_u24_e32 v0, 15, v27
	v_add_nc_u32_e32 v55, 0xa00, v57
	v_mad_co_u64_u32 v[60:61], null, s8, v54, 0
	s_delay_alu instid0(VALU_DEP_4) | instskip(SKIP_4) | instid1(VALU_DEP_3)
	v_mad_co_u64_u32 v[80:81], null, s8, v97, 0
	v_add_nc_u32_e32 v96, 0x36b, v54
	v_add_co_u32 v28, vcc_lo, s10, v28
	s_wait_alu 0xfffd
	v_add_co_ci_u32_e32 v29, vcc_lo, s11, v29, vcc_lo
	v_mad_co_u64_u32 v[78:79], null, s8, v96, 0
	v_add_nc_u32_e32 v94, 0x271, v54
	s_delay_alu instid0(VALU_DEP_1) | instskip(SKIP_1) | instid1(VALU_DEP_1)
	v_mad_co_u64_u32 v[74:75], null, s8, v94, 0
	v_add_nc_u32_e32 v90, 0x7d, v54
	v_mad_co_u64_u32 v[66:67], null, s8, v90, 0
	v_lshlrev_b32_e32 v0, 3, v0
	s_clause 0x7
	global_load_b128 v[24:27], v0, s[4:5] offset:976
	global_load_b128 v[20:23], v0, s[4:5] offset:992
	global_load_b64 v[42:43], v0, s[4:5] offset:1072
	global_load_b128 v[16:19], v0, s[4:5] offset:1056
	global_load_b128 v[12:15], v0, s[4:5] offset:960
	;; [unrolled: 1-line block ×5, first 2 shown]
	v_add_nc_u32_e32 v95, 0x2ee, v54
	v_add_nc_u32_e32 v93, 0x1f4, v54
	;; [unrolled: 1-line block ×3, first 2 shown]
	ds_load_b32 v51, v57
	v_add_nc_u32_e32 v53, 0xe00, v57
	v_mad_co_u64_u32 v[76:77], null, s8, v95, 0
	v_add_nc_u32_e32 v92, 0x177, v54
	v_mad_co_u64_u32 v[72:73], null, s8, v93, 0
	;; [unrolled: 2-line block ×3, first 2 shown]
	s_delay_alu instid0(VALU_DEP_4)
	v_mad_co_u64_u32 v[70:71], null, s8, v92, 0
	v_add_nc_u32_e32 v56, 0x1a00, v57
	v_add_nc_u32_e32 v52, 0x1200, v57
	;; [unrolled: 1-line block ×3, first 2 shown]
	ds_load_b32 v46, v46 offset:1500
	ds_load_b32 v45, v45
	ds_load_b32 v44, v44
	ds_load_2addr_b32 v[62:63], v58 offset0:116 offset1:241
	ds_load_2addr_b32 v[64:65], v55 offset0:110 offset1:235
	;; [unrolled: 1-line block ×4, first 2 shown]
	v_add_nc_u32_e32 v59, 0x55f, v54
	v_add_nc_u32_e32 v99, 0x465, v54
	;; [unrolled: 1-line block ×4, first 2 shown]
	s_delay_alu instid0(VALU_DEP_2)
	v_mad_co_u64_u32 v[84:85], null, s8, v101, 0
	s_wait_dscnt 0x3
	v_mad_co_u64_u32 v[88:89], null, s9, v54, v[61:62]
	v_mov_b32_e32 v61, v67
	v_mov_b32_e32 v67, v69
	;; [unrolled: 1-line block ×5, first 2 shown]
	v_mad_co_u64_u32 v[89:90], null, s9, v90, v[61:62]
	v_mad_co_u64_u32 v[90:91], null, s9, v91, v[67:68]
	v_mov_b32_e32 v75, v77
	v_mad_co_u64_u32 v[91:92], null, s9, v92, v[69:70]
	v_mov_b32_e32 v77, v79
	v_mov_b32_e32 v61, v81
	v_mad_co_u64_u32 v[92:93], null, s9, v93, v[71:72]
	v_mad_co_u64_u32 v[93:94], null, s9, v94, v[73:74]
	;; [unrolled: 1-line block ×5, first 2 shown]
	v_mov_b32_e32 v71, v91
	v_mov_b32_e32 v61, v88
	;; [unrolled: 1-line block ×3, first 2 shown]
	s_wait_loadcnt 0x3
	s_delay_alu instid0(VALU_DEP_4)
	v_dual_mov_b32 v81, v96 :: v_dual_mul_f32 v96, v49, v15
	s_wait_loadcnt 0x1
	v_dual_mul_f32 v15, v45, v15 :: v_dual_mul_f32 v108, v36, v10
	v_mul_f32_e32 v36, v36, v11
	v_mad_co_u64_u32 v[97:98], null, s8, v59, 0
	s_wait_loadcnt 0x0
	v_mul_f32_e32 v107, v35, v0
	v_mul_f32_e32 v35, v35, v1
	s_wait_dscnt 0x0
	v_dual_mov_b32 v73, v92 :: v_dual_fmac_f32 v108, v57, v11
	v_mul_f32_e32 v92, v34, v22
	v_dual_fmac_f32 v15, v49, v14 :: v_dual_mov_b32 v88, v98
	v_mul_f32_e32 v98, v48, v13
	v_mad_co_u64_u32 v[82:83], null, s8, v99, 0
	v_add_nc_u32_e32 v106, 0x659, v54
	v_fma_f32 v0, v65, v0, -v35
	v_mul_f32_e32 v91, v39, v20
	v_mul_f32_e32 v39, v39, v21
	v_dual_mul_f32 v13, v44, v13 :: v_dual_mul_f32 v34, v34, v23
	v_mov_b32_e32 v67, v83
	s_delay_alu instid0(VALU_DEP_4) | instskip(NEXT) | instid1(VALU_DEP_4)
	v_fmac_f32_e32 v91, v63, v21
	v_fma_f32 v20, v63, v20, -v39
	s_delay_alu instid0(VALU_DEP_4)
	v_fmac_f32_e32 v13, v48, v12
	v_fma_f32 v21, v64, v22, -v34
	v_mad_co_u64_u32 v[99:100], null, s9, v99, v[67:68]
	v_dual_mov_b32 v67, v89 :: v_dual_fmac_f32 v92, v64, v23
	v_mul_f32_e32 v89, v38, v26
	v_mul_f32_e32 v38, v38, v27
	ds_load_2addr_b32 v[86:87], v52 offset0:98 offset1:223
	ds_load_2addr_b32 v[52:53], v53 offset0:104 offset1:229
	v_fmac_f32_e32 v107, v65, v1
	v_mad_co_u64_u32 v[103:104], null, s8, v106, 0
	v_fmac_f32_e32 v89, v62, v27
	v_mov_b32_e32 v79, v95
	v_mul_f32_e32 v95, v37, v16
	v_mul_f32_e32 v37, v37, v17
	v_fma_f32 v26, v62, v26, -v38
	v_lshlrev_b64_e32 v[66:67], 3, v[66:67]
	v_lshlrev_b64_e32 v[72:73], 3, v[72:73]
	v_fmac_f32_e32 v95, v58, v17
	v_fma_f32 v17, v45, v14, -v96
	v_fma_f32 v14, v44, v12, -v98
	v_mov_b32_e32 v83, v99
	v_mul_f32_e32 v99, v32, v7
	s_wait_dscnt 0x1
	v_mul_f32_e32 v7, v86, v7
	s_delay_alu instid0(VALU_DEP_2) | instskip(SKIP_4) | instid1(VALU_DEP_4)
	v_fma_f32 v12, v86, v6, -v99
	v_dual_mov_b32 v77, v94 :: v_dual_mul_f32 v94, v40, v18
	v_mad_co_u64_u32 v[100:101], null, s9, v101, v[69:70]
	v_mov_b32_e32 v69, v90
	v_mul_f32_e32 v90, v50, v25
	v_dual_fmac_f32 v94, v55, v19 :: v_dual_mul_f32 v25, v46, v25
	v_mul_f32_e32 v40, v40, v19
	v_fmac_f32_e32 v7, v32, v6
	s_delay_alu instid0(VALU_DEP_4)
	v_fma_f32 v46, v46, v24, -v90
	v_mul_f32_e32 v90, v30, v3
	s_wait_dscnt 0x0
	v_mul_f32_e32 v3, v52, v3
	v_fma_f32 v18, v55, v18, -v40
	v_sub_f32_e32 v7, v15, v7
	v_mov_b32_e32 v75, v93
	v_fma_f32 v1, v52, v2, -v90
	v_fmac_f32_e32 v3, v30, v2
	v_sub_f32_e32 v11, v21, v18
	v_sub_f32_e32 v2, v17, v12
	v_mad_co_u64_u32 v[101:102], null, s8, v105, 0
	s_delay_alu instid0(VALU_DEP_4) | instskip(NEXT) | instid1(VALU_DEP_4)
	v_sub_f32_e32 v3, v47, v3
	v_add_f32_e32 v27, v7, v11
	v_fma_f32 v11, v21, 2.0, -v11
	v_sub_f32_e32 v1, v51, v1
	v_fma_f32 v17, v17, 2.0, -v2
	v_fma_f32 v21, v47, 2.0, -v3
	v_dual_fmac_f32 v25, v50, v24 :: v_dual_mul_f32 v24, v31, v5
	v_mul_f32_e32 v5, v53, v5
	s_delay_alu instid0(VALU_DEP_4)
	v_sub_f32_e32 v11, v17, v11
	v_fma_f32 v35, v51, 2.0, -v1
	v_fma_f32 v15, v15, 2.0, -v7
	v_fma_f32 v6, v53, v4, -v24
	v_fmac_f32_e32 v5, v31, v4
	v_fma_f32 v4, v57, v10, -v36
	v_sub_f32_e32 v10, v89, v108
	v_fma_f32 v7, v7, 2.0, -v27
	v_sub_f32_e32 v6, v14, v6
	v_lshlrev_b64_e32 v[60:61], 3, v[60:61]
	v_dual_sub_f32 v4, v26, v4 :: v_dual_mul_f32 v93, v41, v42
	v_sub_f32_e32 v24, v1, v10
	v_fma_f32 v10, v89, 2.0, -v10
	v_fma_f32 v14, v14, 2.0, -v6
	s_delay_alu instid0(VALU_DEP_4) | instskip(SKIP_4) | instid1(VALU_DEP_4)
	v_add_f32_e32 v34, v3, v4
	v_fma_f32 v4, v26, 2.0, -v4
	v_fma_f32 v38, v1, 2.0, -v24
	v_dual_sub_f32 v10, v21, v10 :: v_dual_fmac_f32 v93, v56, v43
	v_dual_mov_b32 v85, v100 :: v_dual_mul_f32 v100, v33, v9
	v_sub_f32_e32 v4, v35, v4
	v_lshlrev_b64_e32 v[68:69], 3, v[68:69]
	s_delay_alu instid0(VALU_DEP_4)
	v_sub_f32_e32 v18, v107, v93
	v_add_co_u32 v60, vcc_lo, v28, v60
	v_fma_f32 v19, v87, v8, -v100
	v_fma_f32 v35, v35, 2.0, -v4
	s_wait_alu 0xfffd
	v_add_co_ci_u32_e32 v61, vcc_lo, v29, v61, vcc_lo
	v_lshlrev_b64_e32 v[70:71], 3, v[70:71]
	v_sub_f32_e32 v12, v46, v19
	v_mul_f32_e32 v41, v41, v43
	v_sub_f32_e32 v19, v91, v95
	v_add_co_u32 v66, vcc_lo, v28, v66
	s_delay_alu instid0(VALU_DEP_4) | instskip(NEXT) | instid1(VALU_DEP_4)
	v_sub_f32_e32 v30, v12, v18
	v_fma_f32 v22, v56, v42, -v41
	s_delay_alu instid0(VALU_DEP_4)
	v_sub_f32_e32 v31, v6, v19
	v_fma_f32 v41, v3, 2.0, -v34
	s_wait_alu 0xfffd
	v_add_co_ci_u32_e32 v67, vcc_lo, v29, v67, vcc_lo
	v_sub_f32_e32 v22, v0, v22
	v_fmamk_f32 v26, v30, 0x3f3504f3, v31
	v_fma_f32 v16, v58, v16, -v37
	v_fmamk_f32 v37, v27, 0x3f3504f3, v34
	v_fmamk_f32 v44, v7, 0xbf3504f3, v41
	v_fma_f32 v0, v0, 2.0, -v22
	s_delay_alu instid0(VALU_DEP_4) | instskip(SKIP_3) | instid1(VALU_DEP_4)
	v_dual_mul_f32 v9, v87, v9 :: v_dual_sub_f32 v16, v20, v16
	v_fma_f32 v40, v6, 2.0, -v31
	v_fma_f32 v6, v12, 2.0, -v30
	v_add_co_u32 v68, vcc_lo, v28, v68
	v_dual_fmac_f32 v9, v33, v8 :: v_dual_sub_f32 v8, v92, v94
	s_delay_alu instid0(VALU_DEP_3)
	v_fmamk_f32 v42, v6, 0xbf3504f3, v40
	s_wait_alu 0xfffd
	v_add_co_ci_u32_e32 v69, vcc_lo, v29, v69, vcc_lo
	v_lshlrev_b64_e32 v[74:75], 3, v[74:75]
	v_sub_f32_e32 v23, v2, v8
	v_fma_f32 v8, v92, 2.0, -v8
	v_add_co_u32 v70, vcc_lo, v28, v70
	s_wait_alu 0xfffd
	v_add_co_ci_u32_e32 v71, vcc_lo, v29, v71, vcc_lo
	v_fma_f32 v39, v2, 2.0, -v23
	v_dual_fmac_f32 v37, 0x3f3504f3, v23 :: v_dual_sub_f32 v8, v15, v8
	v_lshlrev_b64_e32 v[76:77], 3, v[76:77]
	v_add_co_u32 v72, vcc_lo, v28, v72
	s_delay_alu instid0(VALU_DEP_4) | instskip(NEXT) | instid1(VALU_DEP_4)
	v_dual_fmac_f32 v44, 0x3f3504f3, v39 :: v_dual_sub_f32 v9, v25, v9
	v_fma_f32 v34, v34, 2.0, -v37
	v_sub_f32_e32 v5, v13, v5
	v_fma_f32 v18, v107, 2.0, -v18
	s_wait_alu 0xfffd
	v_add_co_ci_u32_e32 v73, vcc_lo, v29, v73, vcc_lo
	v_add_f32_e32 v32, v9, v22
	v_add_f32_e32 v33, v5, v16
	v_fma_f32 v16, v20, 2.0, -v16
	v_fma_f32 v20, v25, 2.0, -v9
	;; [unrolled: 1-line block ×4, first 2 shown]
	v_fmamk_f32 v36, v32, 0x3f3504f3, v33
	v_sub_f32_e32 v16, v14, v16
	v_sub_f32_e32 v18, v20, v18
	;; [unrolled: 1-line block ×3, first 2 shown]
	v_fmac_f32_e32 v26, 0xbf3504f3, v32
	v_fmac_f32_e32 v36, 0x3f3504f3, v30
	v_fmamk_f32 v32, v39, 0xbf3504f3, v38
	v_fmamk_f32 v22, v23, 0x3f3504f3, v24
	v_fma_f32 v12, v5, 2.0, -v33
	v_dual_sub_f32 v23, v4, v8 :: v_dual_add_f32 v30, v11, v10
	v_fma_f32 v11, v17, 2.0, -v11
	v_fma_f32 v17, v20, 2.0, -v18
	;; [unrolled: 1-line block ×4, first 2 shown]
	v_fmac_f32_e32 v32, 0xbf3504f3, v7
	v_fma_f32 v13, v13, 2.0, -v5
	v_sub_f32_e32 v5, v16, v18
	v_fma_f32 v18, v21, 2.0, -v10
	v_fma_f32 v25, v31, 2.0, -v26
	;; [unrolled: 1-line block ×3, first 2 shown]
	v_fmac_f32_e32 v22, 0xbf3504f3, v27
	v_fmamk_f32 v43, v9, 0xbf3504f3, v12
	v_sub_f32_e32 v21, v18, v8
	v_fmamk_f32 v3, v5, 0x3f3504f3, v23
	v_fmamk_f32 v8, v31, 0xbec3ef15, v34
	;; [unrolled: 1-line block ×3, first 2 shown]
	v_fmac_f32_e32 v43, 0x3f3504f3, v6
	v_fmac_f32_e32 v42, 0xbf3504f3, v9
	v_fma_f32 v14, v14, 2.0, -v16
	v_fmac_f32_e32 v8, 0x3f6c835e, v25
	v_fma_f32 v19, v91, 2.0, -v19
	;; [unrolled: 2-line block ×3, first 2 shown]
	v_sub_f32_e32 v20, v35, v11
	v_sub_f32_e32 v15, v14, v15
	;; [unrolled: 1-line block ×3, first 2 shown]
	v_fma_f32 v45, v10, 2.0, -v30
	v_fma_f32 v24, v24, 2.0, -v22
	;; [unrolled: 1-line block ×3, first 2 shown]
	v_add_f32_e32 v6, v21, v15
	v_add_f32_e32 v27, v0, v19
	v_fmamk_f32 v0, v36, 0x3f6c835e, v37
	v_fma_f32 v36, v12, 2.0, -v43
	v_fma_f32 v13, v13, 2.0, -v19
	v_lshlrev_b64_e32 v[78:79], 3, v[78:79]
	v_fmamk_f32 v2, v27, 0x3f3504f3, v30
	v_fmac_f32_e32 v0, 0x3ec3ef15, v26
	v_fma_f32 v26, v38, 2.0, -v32
	v_fma_f32 v38, v41, 2.0, -v44
	;; [unrolled: 1-line block ×3, first 2 shown]
	v_fmac_f32_e32 v3, 0xbf3504f3, v27
	v_fma_f32 v27, v40, 2.0, -v42
	v_fma_f32 v41, v18, 2.0, -v21
	v_dual_fmamk_f32 v18, v36, 0xbf6c835e, v38 :: v_dual_sub_f32 v17, v13, v17
	v_fma_f32 v40, v14, 2.0, -v15
	v_add_co_u32 v74, vcc_lo, v28, v74
	s_delay_alu instid0(VALU_DEP_3)
	v_fmac_f32_e32 v18, 0x3ec3ef15, v27
	v_fma_f32 v33, v4, 2.0, -v23
	v_sub_f32_e32 v7, v20, v17
	v_fma_f32 v46, v13, 2.0, -v17
	v_fmac_f32_e32 v2, 0x3f3504f3, v5
	v_fmamk_f32 v5, v42, 0x3ec3ef15, v32
	v_fmamk_f32 v11, v39, 0xbf3504f3, v33
	;; [unrolled: 1-line block ×3, first 2 shown]
	s_wait_alu 0xfffd
	v_add_co_ci_u32_e32 v75, vcc_lo, v29, v75, vcc_lo
	v_fmamk_f32 v9, v25, 0xbec3ef15, v24
	v_fmac_f32_e32 v11, 0xbf3504f3, v19
	v_fmamk_f32 v19, v27, 0xbf6c835e, v26
	v_lshlrev_b64_e32 v[80:81], 3, v[80:81]
	v_add_co_u32 v76, vcc_lo, v28, v76
	v_fmamk_f32 v4, v43, 0x3ec3ef15, v44
	v_fma_f32 v17, v20, 2.0, -v7
	v_fma_f32 v16, v21, 2.0, -v6
	v_dual_sub_f32 v21, v35, v40 :: v_dual_sub_f32 v20, v41, v46
	s_wait_alu 0xfffd
	v_add_co_ci_u32_e32 v77, vcc_lo, v29, v77, vcc_lo
	v_fmac_f32_e32 v5, 0xbf6c835e, v43
	v_fmac_f32_e32 v19, 0xbec3ef15, v36
	v_lshlrev_b64_e32 v[82:83], 3, v[82:83]
	v_add_co_u32 v78, vcc_lo, v28, v78
	v_fmac_f32_e32 v10, 0x3f3504f3, v39
	v_fmac_f32_e32 v9, 0xbf6c835e, v31
	s_wait_alu 0xfffd
	v_add_co_ci_u32_e32 v79, vcc_lo, v29, v79, vcc_lo
	v_add_co_u32 v80, vcc_lo, v28, v80
	v_fma_f32 v14, v30, 2.0, -v2
	v_fmac_f32_e32 v4, 0x3f6c835e, v42
	v_fma_f32 v31, v35, 2.0, -v21
	v_fma_f32 v30, v41, 2.0, -v20
	;; [unrolled: 1-line block ×7, first 2 shown]
	s_wait_alu 0xfffd
	v_add_co_ci_u32_e32 v81, vcc_lo, v29, v81, vcc_lo
	v_fma_f32 v26, v45, 2.0, -v10
	v_add_co_u32 v82, vcc_lo, v28, v82
	v_fma_f32 v25, v24, 2.0, -v9
	v_fma_f32 v24, v34, 2.0, -v8
	s_wait_alu 0xfffd
	v_add_co_ci_u32_e32 v83, vcc_lo, v29, v83, vcc_lo
	v_fma_f32 v13, v22, 2.0, -v1
	v_fma_f32 v12, v37, 2.0, -v0
	;; [unrolled: 1-line block ×3, first 2 shown]
	s_clause 0x9
	global_store_b64 v[60:61], v[30:31], off
	global_store_b64 v[66:67], v[32:33], off
	;; [unrolled: 1-line block ×10, first 2 shown]
	v_mad_co_u64_u32 v[15:16], null, s9, v59, v[88:89]
	v_lshlrev_b64_e32 v[84:85], 3, v[84:85]
	v_dual_mov_b32 v14, v102 :: v_dual_add_nc_u32 v21, 0x6d6, v54
	v_add_nc_u32_e32 v22, 0x753, v54
	s_delay_alu instid0(VALU_DEP_2) | instskip(NEXT) | instid1(VALU_DEP_4)
	v_mad_co_u64_u32 v[16:17], null, s9, v105, v[14:15]
	v_add_co_u32 v12, vcc_lo, v28, v84
	v_mov_b32_e32 v14, v104
	v_mad_co_u64_u32 v[17:18], null, s8, v21, 0
	s_wait_alu 0xfffd
	v_add_co_ci_u32_e32 v13, vcc_lo, v29, v85, vcc_lo
	v_mov_b32_e32 v98, v15
	v_mad_co_u64_u32 v[19:20], null, s9, v106, v[14:15]
	v_mad_co_u64_u32 v[14:15], null, s8, v22, 0
	global_store_b64 v[12:13], v[10:11], off
	v_lshlrev_b64_e32 v[11:12], 3, v[97:98]
	v_mov_b32_e32 v10, v18
	v_mov_b32_e32 v102, v16
	;; [unrolled: 1-line block ×3, first 2 shown]
	s_delay_alu instid0(VALU_DEP_3)
	v_mad_co_u64_u32 v[18:19], null, s9, v21, v[10:11]
	v_mov_b32_e32 v10, v15
	v_add_co_u32 v11, vcc_lo, v28, v11
	v_lshlrev_b64_e32 v[15:16], 3, v[101:102]
	s_wait_alu 0xfffd
	v_add_co_ci_u32_e32 v12, vcc_lo, v29, v12, vcc_lo
	s_delay_alu instid0(VALU_DEP_3) | instskip(SKIP_1) | instid1(VALU_DEP_4)
	v_mad_co_u64_u32 v[19:20], null, s9, v22, v[10:11]
	v_lshlrev_b64_e32 v[20:21], 3, v[103:104]
	v_add_co_u32 v22, vcc_lo, v28, v15
	s_wait_alu 0xfffd
	v_add_co_ci_u32_e32 v23, vcc_lo, v29, v16, vcc_lo
	v_lshlrev_b64_e32 v[16:17], 3, v[17:18]
	v_mov_b32_e32 v15, v19
	v_add_co_u32 v18, vcc_lo, v28, v20
	s_wait_alu 0xfffd
	v_add_co_ci_u32_e32 v19, vcc_lo, v29, v21, vcc_lo
	s_delay_alu instid0(VALU_DEP_3) | instskip(SKIP_3) | instid1(VALU_DEP_3)
	v_lshlrev_b64_e32 v[13:14], 3, v[14:15]
	v_add_co_u32 v15, vcc_lo, v28, v16
	s_wait_alu 0xfffd
	v_add_co_ci_u32_e32 v16, vcc_lo, v29, v17, vcc_lo
	v_add_co_u32 v13, vcc_lo, v28, v13
	s_wait_alu 0xfffd
	v_add_co_ci_u32_e32 v14, vcc_lo, v29, v14, vcc_lo
	s_clause 0x4
	global_store_b64 v[11:12], v[8:9], off
	global_store_b64 v[22:23], v[6:7], off
	;; [unrolled: 1-line block ×5, first 2 shown]
.LBB0_37:
	s_nop 0
	s_sendmsg sendmsg(MSG_DEALLOC_VGPRS)
	s_endpgm
	.section	.rodata,"a",@progbits
	.p2align	6, 0x0
	.amdhsa_kernel fft_rtc_back_len2000_factors_5_5_5_16_wgs_125_tpt_125_halfLds_sp_ip_CI_sbrr_dirReg
		.amdhsa_group_segment_fixed_size 0
		.amdhsa_private_segment_fixed_size 0
		.amdhsa_kernarg_size 88
		.amdhsa_user_sgpr_count 2
		.amdhsa_user_sgpr_dispatch_ptr 0
		.amdhsa_user_sgpr_queue_ptr 0
		.amdhsa_user_sgpr_kernarg_segment_ptr 1
		.amdhsa_user_sgpr_dispatch_id 0
		.amdhsa_user_sgpr_private_segment_size 0
		.amdhsa_wavefront_size32 1
		.amdhsa_uses_dynamic_stack 0
		.amdhsa_enable_private_segment 0
		.amdhsa_system_sgpr_workgroup_id_x 1
		.amdhsa_system_sgpr_workgroup_id_y 0
		.amdhsa_system_sgpr_workgroup_id_z 0
		.amdhsa_system_sgpr_workgroup_info 0
		.amdhsa_system_vgpr_workitem_id 0
		.amdhsa_next_free_vgpr 109
		.amdhsa_next_free_sgpr 35
		.amdhsa_reserve_vcc 1
		.amdhsa_float_round_mode_32 0
		.amdhsa_float_round_mode_16_64 0
		.amdhsa_float_denorm_mode_32 3
		.amdhsa_float_denorm_mode_16_64 3
		.amdhsa_fp16_overflow 0
		.amdhsa_workgroup_processor_mode 1
		.amdhsa_memory_ordered 1
		.amdhsa_forward_progress 0
		.amdhsa_round_robin_scheduling 0
		.amdhsa_exception_fp_ieee_invalid_op 0
		.amdhsa_exception_fp_denorm_src 0
		.amdhsa_exception_fp_ieee_div_zero 0
		.amdhsa_exception_fp_ieee_overflow 0
		.amdhsa_exception_fp_ieee_underflow 0
		.amdhsa_exception_fp_ieee_inexact 0
		.amdhsa_exception_int_div_zero 0
	.end_amdhsa_kernel
	.text
.Lfunc_end0:
	.size	fft_rtc_back_len2000_factors_5_5_5_16_wgs_125_tpt_125_halfLds_sp_ip_CI_sbrr_dirReg, .Lfunc_end0-fft_rtc_back_len2000_factors_5_5_5_16_wgs_125_tpt_125_halfLds_sp_ip_CI_sbrr_dirReg
                                        ; -- End function
	.section	.AMDGPU.csdata,"",@progbits
; Kernel info:
; codeLenInByte = 13484
; NumSgprs: 37
; NumVgprs: 109
; ScratchSize: 0
; MemoryBound: 0
; FloatMode: 240
; IeeeMode: 1
; LDSByteSize: 0 bytes/workgroup (compile time only)
; SGPRBlocks: 4
; VGPRBlocks: 13
; NumSGPRsForWavesPerEU: 37
; NumVGPRsForWavesPerEU: 109
; Occupancy: 12
; WaveLimiterHint : 1
; COMPUTE_PGM_RSRC2:SCRATCH_EN: 0
; COMPUTE_PGM_RSRC2:USER_SGPR: 2
; COMPUTE_PGM_RSRC2:TRAP_HANDLER: 0
; COMPUTE_PGM_RSRC2:TGID_X_EN: 1
; COMPUTE_PGM_RSRC2:TGID_Y_EN: 0
; COMPUTE_PGM_RSRC2:TGID_Z_EN: 0
; COMPUTE_PGM_RSRC2:TIDIG_COMP_CNT: 0
	.text
	.p2alignl 7, 3214868480
	.fill 96, 4, 3214868480
	.type	__hip_cuid_b18988f4426fe2c5,@object ; @__hip_cuid_b18988f4426fe2c5
	.section	.bss,"aw",@nobits
	.globl	__hip_cuid_b18988f4426fe2c5
__hip_cuid_b18988f4426fe2c5:
	.byte	0                               ; 0x0
	.size	__hip_cuid_b18988f4426fe2c5, 1

	.ident	"AMD clang version 19.0.0git (https://github.com/RadeonOpenCompute/llvm-project roc-6.4.0 25133 c7fe45cf4b819c5991fe208aaa96edf142730f1d)"
	.section	".note.GNU-stack","",@progbits
	.addrsig
	.addrsig_sym __hip_cuid_b18988f4426fe2c5
	.amdgpu_metadata
---
amdhsa.kernels:
  - .args:
      - .actual_access:  read_only
        .address_space:  global
        .offset:         0
        .size:           8
        .value_kind:     global_buffer
      - .offset:         8
        .size:           8
        .value_kind:     by_value
      - .actual_access:  read_only
        .address_space:  global
        .offset:         16
        .size:           8
        .value_kind:     global_buffer
      - .actual_access:  read_only
        .address_space:  global
        .offset:         24
        .size:           8
        .value_kind:     global_buffer
      - .offset:         32
        .size:           8
        .value_kind:     by_value
      - .actual_access:  read_only
        .address_space:  global
        .offset:         40
        .size:           8
        .value_kind:     global_buffer
      - .actual_access:  read_only
        .address_space:  global
        .offset:         48
        .size:           8
        .value_kind:     global_buffer
      - .offset:         56
        .size:           4
        .value_kind:     by_value
      - .actual_access:  read_only
        .address_space:  global
        .offset:         64
        .size:           8
        .value_kind:     global_buffer
      - .actual_access:  read_only
        .address_space:  global
        .offset:         72
        .size:           8
        .value_kind:     global_buffer
      - .address_space:  global
        .offset:         80
        .size:           8
        .value_kind:     global_buffer
    .group_segment_fixed_size: 0
    .kernarg_segment_align: 8
    .kernarg_segment_size: 88
    .language:       OpenCL C
    .language_version:
      - 2
      - 0
    .max_flat_workgroup_size: 125
    .name:           fft_rtc_back_len2000_factors_5_5_5_16_wgs_125_tpt_125_halfLds_sp_ip_CI_sbrr_dirReg
    .private_segment_fixed_size: 0
    .sgpr_count:     37
    .sgpr_spill_count: 0
    .symbol:         fft_rtc_back_len2000_factors_5_5_5_16_wgs_125_tpt_125_halfLds_sp_ip_CI_sbrr_dirReg.kd
    .uniform_work_group_size: 1
    .uses_dynamic_stack: false
    .vgpr_count:     109
    .vgpr_spill_count: 0
    .wavefront_size: 32
    .workgroup_processor_mode: 1
amdhsa.target:   amdgcn-amd-amdhsa--gfx1201
amdhsa.version:
  - 1
  - 2
...

	.end_amdgpu_metadata
